;; amdgpu-corpus repo=triton-lang/triton kind=triton arch=gfx1201 opt=O3 lang=triton
	.amdgcn_target "amdgcn-amd-amdhsa--gfx1201"
	.amdhsa_code_object_version 5
	.text
	.globl	_attn_bwd                       ; -- Begin function _attn_bwd
	.p2align	8
	.type	_attn_bwd,@function
_attn_bwd:                              ; @_attn_bwd
.Lfunc_begin0:
	.file	1 "/root/src/amdgpu-assembly/repos/triton-lang__triton-aot" "attention_bwd.py"
	.loc	1 126 0                         ; attention_bwd.py:126:0
	.cfi_sections .debug_frame
	.cfi_startproc
; %bb.0:
	s_clause 0x1
	s_load_b64 vcc, s[0:1], 0x60
	s_load_b128 s[12:15], s[0:1], 0x50
	s_lshr_b32 s81, ttmp7, 16
.Ltmp0:
	.loc	1 114 19 prologue_end           ; attention_bwd.py:114:19 @[ attention_bwd.py:253:40 ]
	s_bfe_u32 s33, ttmp8, 0x50019
.Ltmp1:
	.loc	1 165 36                        ; attention_bwd.py:165:36
	v_and_b32_e32 v3, 31, v0
                                        ; implicit-def: $vgpr252 : SGPR spill to VGPR lane
                                        ; implicit-def: $vgpr254 : SGPR spill to VGPR lane
	v_and_b32_e32 v143, 15, v0
	.loc	1 171 16                        ; attention_bwd.py:171:16
	v_and_b32_e32 v104, 16, v0
                                        ; implicit-def: $vgpr253 : SGPR spill to VGPR lane
	s_delay_alu instid0(VALU_DEP_2)
	v_lshlrev_b32_e32 v105, 8, v143
	.loc	1 144 55                        ; attention_bwd.py:144:55
	s_wait_kmcnt 0x0
	s_abs_i32 s2, vcc_lo
	s_ashr_i32 s8, vcc_lo, 31
	s_cvt_f32_u32 s3, s2
	s_sub_co_i32 s4, 0, s2
	s_delay_alu instid0(SALU_CYCLE_2) | instskip(NEXT) | instid1(TRANS32_DEP_1)
	v_rcp_iflag_f32_e32 v1, s3
	v_readfirstlane_b32 s3, v1
	s_mul_f32 s3, s3, 0x4f7ffffe
	s_wait_alu depctr_sa_sdst(0)
	s_delay_alu instid0(SALU_CYCLE_2) | instskip(SKIP_1) | instid1(SALU_CYCLE_2)
	s_cvt_u32_f32 s3, s3
	s_wait_alu depctr_sa_sdst(0)
	s_mul_i32 s4, s4, s3
	s_delay_alu instid0(SALU_CYCLE_1) | instskip(NEXT) | instid1(SALU_CYCLE_1)
	s_mul_hi_u32 s4, s3, s4
	s_add_co_i32 s3, s3, s4
	s_wait_alu depctr_sa_sdst(0)
	s_mul_hi_u32 s3, s81, s3
	s_wait_alu depctr_sa_sdst(0)
	s_mul_i32 s4, s3, s2
	s_add_co_i32 s10, s3, 1
	s_sub_co_i32 s9, s81, s4
	s_clause 0x1
	s_load_b128 s[4:7], s[0:1], 0x0
	s_load_b64 s[20:21], s[0:1], 0x10
	s_sub_co_i32 s11, s9, s2
	s_cmp_ge_u32 s9, s2
	s_cselect_b32 s3, s10, s3
	s_cselect_b32 s9, s11, s9
	s_wait_alu depctr_sa_sdst(0)
	s_add_co_i32 s10, s3, 1
	s_cmp_ge_u32 s9, s2
	s_cselect_b32 s2, s10, s3
	.loc	1 165 36                        ; attention_bwd.py:165:36
	s_lshl_b32 s80, s33, 5
	.loc	1 161 20                        ; attention_bwd.py:161:20
	s_lshl_b32 s3, ttmp9, 6
	.loc	1 165 36                        ; attention_bwd.py:165:36
	v_or_b32_e32 v103, s80, v3
	s_bfe_u32 s86, s33, 0x10002
	.loc	1 144 55                        ; attention_bwd.py:144:55
	s_wait_alu depctr_sa_sdst(0)
	s_xor_b32 s2, s2, s8
	v_writelane_b32 v252, s3, 0
	.loc	1 165 36                        ; attention_bwd.py:165:36
	s_or_b32 s3, s86, s3
	.loc	1 171 58                        ; attention_bwd.py:171:58
	v_and_b32_e32 v68, 0x7f, v103
	.loc	1 144 55                        ; attention_bwd.py:144:55
	s_wait_alu depctr_sa_sdst(0)
	s_sub_co_i32 s2, s2, s8
	.loc	1 165 23                        ; attention_bwd.py:165:23
	s_or_b32 s8, s3, 2
	s_or_b32 s9, s3, 4
	;; [unrolled: 1-line block ×3, first 2 shown]
	.loc	1 171 69                        ; attention_bwd.py:171:69
	v_mul_lo_u32 v1, s15, v68
	.loc	1 165 23                        ; attention_bwd.py:165:23
	s_or_b32 s11, s3, 8
	s_or_b32 s16, s3, 10
	;; [unrolled: 1-line block ×28, first 2 shown]
	.loc	1 171 38                        ; attention_bwd.py:171:38
	s_mul_i32 s76, s14, s3
	.loc	1 144 30                        ; attention_bwd.py:144:30
	s_wait_alu depctr_sa_sdst(0)
	s_mul_i32 s3, s2, vcc_lo
	.loc	1 144 47 is_stmt 0              ; attention_bwd.py:144:47
	s_mul_i32 s2, s2, s12
	.loc	1 144 30                        ; attention_bwd.py:144:30
	s_wait_alu depctr_sa_sdst(0)
	s_sub_co_i32 s3, s81, s3
	.loc	1 171 51 is_stmt 1              ; attention_bwd.py:171:51
	v_ashrrev_i32_e32 v2, 31, v1
	.loc	1 144 23                        ; attention_bwd.py:144:23
	s_wait_alu depctr_sa_sdst(0)
	s_mul_i32 s3, s3, s13
	.loc	1 171 38                        ; attention_bwd.py:171:38
	s_mul_i32 s78, s14, s8
	.loc	1 144 35                        ; attention_bwd.py:144:35
	s_wait_alu depctr_sa_sdst(0)
	s_add_co_i32 s2, s2, s3
	.loc	1 171 20                        ; attention_bwd.py:171:20
	s_ashr_i32 s77, s76, 31
	.loc	1 144 62                        ; attention_bwd.py:144:62
	s_wait_alu depctr_sa_sdst(0)
	s_ashr_i32 s3, s2, 31
	.loc	1 171 51                        ; attention_bwd.py:171:51
	v_lshlrev_b64_e32 v[162:163], 1, v[1:2]
	.loc	1 148 9                         ; attention_bwd.py:148:9
	s_wait_alu depctr_sa_sdst(0)
	s_lshl_b64 s[12:13], s[2:3], 1
	.loc	1 171 38                        ; attention_bwd.py:171:38
	s_mul_i32 s72, s14, s9
	s_mul_i32 s60, s14, s22
	;; [unrolled: 1-line block ×3, first 2 shown]
	.loc	1 149 9                         ; attention_bwd.py:149:9
	s_wait_kmcnt 0x0
	s_add_nc_u64 s[22:23], s[6:7], s[12:13]
	.loc	1 171 20                        ; attention_bwd.py:171:20
	s_ashr_i32 s79, s78, 31
	s_lshl_b64 s[82:83], s[76:77], 1
	.loc	1 171 38 is_stmt 0              ; attention_bwd.py:171:38
	s_mul_i32 s74, s14, s10
	.loc	1 171 20                        ; attention_bwd.py:171:20
	s_lshl_b64 s[84:85], s[78:79], 1
	s_add_nc_u64 s[76:77], s[22:23], s[82:83]
	s_ashr_i32 s73, s72, 31
	.loc	1 171 38                        ; attention_bwd.py:171:38
	s_mul_i32 s70, s14, s11
	.loc	1 171 20                        ; attention_bwd.py:171:20
	s_add_nc_u64 s[78:79], s[22:23], s[84:85]
	s_ashr_i32 s75, s74, 31
	s_lshl_b64 s[88:89], s[72:73], 1
	.loc	1 171 51                        ; attention_bwd.py:171:51
	v_add_co_u32 v4, vcc_lo, s76, v162
	.loc	1 171 38                        ; attention_bwd.py:171:38
	s_mul_i32 s68, s14, s16
	.loc	1 171 20                        ; attention_bwd.py:171:20
	s_lshl_b64 s[90:91], s[74:75], 1
	s_add_nc_u64 s[72:73], s[22:23], s[88:89]
	s_ashr_i32 s71, s70, 31
	.loc	1 171 51                        ; attention_bwd.py:171:51
	v_add_co_ci_u32_e64 v5, null, s77, v163, vcc_lo
	v_add_co_u32 v6, vcc_lo, s78, v162
	.loc	1 171 38                        ; attention_bwd.py:171:38
	s_mul_i32 s66, s14, s17
	.loc	1 171 20                        ; attention_bwd.py:171:20
	s_add_nc_u64 s[74:75], s[22:23], s[90:91]
	s_lshl_b64 s[92:93], s[70:71], 1
	s_ashr_i32 s69, s68, 31
	.loc	1 171 51                        ; attention_bwd.py:171:51
	s_wait_alu depctr_va_vcc(0)
	v_add_co_ci_u32_e64 v7, null, s79, v163, vcc_lo
	v_add_co_u32 v8, vcc_lo, s72, v162
	.loc	1 171 38                        ; attention_bwd.py:171:38
	s_mul_i32 s64, s14, s18
	.loc	1 171 20                        ; attention_bwd.py:171:20
	s_add_nc_u64 s[70:71], s[22:23], s[92:93]
	s_lshl_b64 s[94:95], s[68:69], 1
	s_ashr_i32 s67, s66, 31
	.loc	1 171 51                        ; attention_bwd.py:171:51
	s_wait_alu depctr_va_vcc(0)
	v_add_co_ci_u32_e64 v9, null, s73, v163, vcc_lo
	v_add_co_u32 v10, vcc_lo, s74, v162
	.loc	1 171 38                        ; attention_bwd.py:171:38
	s_mul_i32 s62, s14, s19
	.loc	1 171 20                        ; attention_bwd.py:171:20
	s_add_nc_u64 s[68:69], s[22:23], s[94:95]
	s_lshl_b64 s[96:97], s[66:67], 1
	s_ashr_i32 s65, s64, 31
	.loc	1 171 51                        ; attention_bwd.py:171:51
	s_wait_alu depctr_va_vcc(0)
	v_add_co_ci_u32_e64 v11, null, s75, v163, vcc_lo
	v_add_co_u32 v12, vcc_lo, s70, v162
	.loc	1 171 20                        ; attention_bwd.py:171:20
	s_add_nc_u64 s[66:67], s[22:23], s[96:97]
	s_lshl_b64 s[76:77], s[64:65], 1
	s_ashr_i32 s63, s62, 31
	.loc	1 171 51                        ; attention_bwd.py:171:51
	s_wait_alu depctr_va_vcc(0)
	v_add_co_ci_u32_e64 v13, null, s71, v163, vcc_lo
	v_add_co_u32 v14, vcc_lo, s68, v162
	.loc	1 171 20                        ; attention_bwd.py:171:20
	s_wait_alu depctr_sa_sdst(0)
	s_add_nc_u64 s[64:65], s[22:23], s[76:77]
	s_lshl_b64 s[78:79], s[62:63], 1
	s_ashr_i32 s61, s60, 31
	.loc	1 171 51                        ; attention_bwd.py:171:51
	s_wait_alu depctr_va_vcc(0)
	v_add_co_ci_u32_e64 v15, null, s69, v163, vcc_lo
	v_add_co_u32 v16, vcc_lo, s66, v162
	.loc	1 171 38                        ; attention_bwd.py:171:38
	s_mul_i32 s56, s14, s24
	.loc	1 171 20                        ; attention_bwd.py:171:20
	s_wait_alu depctr_sa_sdst(0)
	s_add_nc_u64 s[62:63], s[22:23], s[78:79]
	s_lshl_b64 s[72:73], s[60:61], 1
	s_ashr_i32 s59, s58, 31
	.loc	1 171 51                        ; attention_bwd.py:171:51
	s_wait_alu depctr_va_vcc(0)
	v_add_co_ci_u32_e64 v17, null, s67, v163, vcc_lo
	v_add_co_u32 v18, vcc_lo, s64, v162
	.loc	1 171 38                        ; attention_bwd.py:171:38
	s_mul_i32 s54, s14, s25
	;; [unrolled: 11-line block ×3, first 2 shown]
	s_mul_i32 s2, s14, s55
	.loc	1 171 20                        ; attention_bwd.py:171:20
	s_wait_alu depctr_sa_sdst(0)
	s_add_nc_u64 s[58:59], s[22:23], s[74:75]
	s_lshl_b64 s[70:71], s[56:57], 1
	s_ashr_i32 s55, s54, 31
	.loc	1 171 51                        ; attention_bwd.py:171:51
	s_wait_alu depctr_va_vcc(0)
	v_add_co_ci_u32_e64 v21, null, s63, v163, vcc_lo
	v_add_co_u32 v22, vcc_lo, s60, v162
	.loc	1 171 38                        ; attention_bwd.py:171:38
	s_mul_i32 s50, s14, s27
	s_mul_i32 s8, s14, s53
	.loc	1 171 20                        ; attention_bwd.py:171:20
	s_wait_alu depctr_sa_sdst(0)
	s_add_nc_u64 s[56:57], s[22:23], s[70:71]
	s_lshl_b64 s[68:69], s[54:55], 1
	s_ashr_i32 s53, s52, 31
	.loc	1 171 51                        ; attention_bwd.py:171:51
	s_wait_alu depctr_va_vcc(0)
	v_add_co_ci_u32_e64 v23, null, s61, v163, vcc_lo
	v_add_co_u32 v24, vcc_lo, s58, v162
	.loc	1 171 38                        ; attention_bwd.py:171:38
	s_mul_i32 s48, s14, s28
	;; [unrolled: 12-line block ×9, first 2 shown]
	.loc	1 171 20                        ; attention_bwd.py:171:20
	s_wait_alu depctr_sa_sdst(0)
	s_add_nc_u64 s[40:41], s[22:23], s[54:55]
	s_lshl_b64 s[52:53], s[38:39], 1
	s_ashr_i32 s37, s36, 31
	.loc	1 171 51                        ; attention_bwd.py:171:51
	s_wait_alu depctr_va_vcc(0)
	v_add_co_ci_u32_e64 v39, null, s45, v163, vcc_lo
	v_add_co_u32 v40, vcc_lo, s42, v162
	.loc	1 171 20                        ; attention_bwd.py:171:20
	s_wait_alu depctr_sa_sdst(0)
	s_add_nc_u64 s[38:39], s[22:23], s[52:53]
	s_lshl_b64 s[50:51], s[36:37], 1
	s_ashr_i32 s35, s34, 31
	.loc	1 171 51                        ; attention_bwd.py:171:51
	s_wait_alu depctr_va_vcc(0)
	v_add_co_ci_u32_e64 v41, null, s43, v163, vcc_lo
	v_add_co_u32 v42, vcc_lo, s40, v162
	;; [unrolled: 9-line block ×10, first 2 shown]
	.loc	1 171 20                        ; attention_bwd.py:171:20
	s_add_nc_u64 s[10:11], s[22:23], s[98:99]
	s_lshl_b64 s[30:31], s[8:9], 1
	s_ashr_i32 s3, s2, 31
	.loc	1 171 51                        ; attention_bwd.py:171:51
	s_wait_alu depctr_va_vcc(0)
	v_add_co_ci_u32_e64 v59, null, s19, v163, vcc_lo
	v_add_co_u32 v60, vcc_lo, s16, v162
	.loc	1 171 20                        ; attention_bwd.py:171:20
	s_wait_alu depctr_sa_sdst(0)
	s_add_nc_u64 s[8:9], s[22:23], s[30:31]
	s_lshl_b64 s[28:29], s[2:3], 1
	.loc	1 171 51                        ; attention_bwd.py:171:51
	s_wait_alu depctr_va_vcc(0)
	v_add_co_ci_u32_e64 v61, null, s17, v163, vcc_lo
	v_add_co_u32 v62, vcc_lo, s10, v162
	v_writelane_b32 v252, s22, 1
	.loc	1 171 20                        ; attention_bwd.py:171:20
	s_wait_alu depctr_sa_sdst(0)
	s_add_nc_u64 s[2:3], s[22:23], s[28:29]
	.loc	1 171 51                        ; attention_bwd.py:171:51
	s_wait_alu depctr_va_vcc(0)
	v_add_co_ci_u32_e64 v63, null, s11, v163, vcc_lo
	v_add_co_u32 v64, vcc_lo, s8, v162
	s_wait_alu depctr_va_vcc(0)
	v_add_co_ci_u32_e64 v65, null, s9, v163, vcc_lo
	s_wait_alu depctr_sa_sdst(0)
	v_add_co_u32 v66, vcc_lo, s2, v162
	s_wait_alu depctr_va_vcc(0)
	v_add_co_ci_u32_e64 v67, null, s3, v163, vcc_lo
	.loc	1 171 16                        ; attention_bwd.py:171:16
	s_clause 0x1f
	global_load_u16 v69, v[4:5], off
	global_load_u16 v70, v[6:7], off
	;; [unrolled: 1-line block ×32, first 2 shown]
	v_writelane_b32 v252, s23, 2
	v_lshlrev_b32_e32 v4, 4, v143
	.loc	1 165 36 is_stmt 1              ; attention_bwd.py:165:36
	s_and_b32 s104, s80, 0x60
	.loc	1 171 16                        ; attention_bwd.py:171:16
	v_lshlrev_b32_e32 v11, 1, v68
	s_lshl_b32 s2, s104, 7
	v_writelane_b32 v252, s20, 3
	v_xor_b32_e32 v4, v4, v104
	.loc	1 150 9                         ; attention_bwd.py:150:9
	s_add_nc_u64 s[18:19], s[20:21], s[12:13]
	v_writelane_b32 v252, s21, 4
	.loc	1 171 16                        ; attention_bwd.py:171:16
	s_wait_alu depctr_sa_sdst(0)
	s_delay_alu instid0(VALU_DEP_2)
	v_or3_b32 v4, s2, v4, v105
	.loc	1 165 36                        ; attention_bwd.py:165:36
	s_bfe_i32 s2, s33, 0x10002
	.loc	1 171 16                        ; attention_bwd.py:171:16
	s_wait_alu depctr_sa_sdst(0)
	s_and_b32 s2, s2, 0x110
	v_writelane_b32 v252, s82, 5
	v_add_nc_u32_e32 v128, 0, v4
	v_xor_b32_e32 v5, 32, v4
	v_xor_b32_e32 v6, 64, v4
	;; [unrolled: 1-line block ×3, first 2 shown]
	v_writelane_b32 v252, s83, 6
	v_xor_b32_e32 v8, 0x80, v4
	v_xor_b32_e32 v9, 0xa0, v4
	;; [unrolled: 1-line block ×4, first 2 shown]
	v_writelane_b32 v252, s84, 7
	s_wait_alu depctr_sa_sdst(0)
	v_xor_b32_e32 v64, s2, v11
	.loc	1 172 20                        ; attention_bwd.py:172:20
	s_add_nc_u64 s[2:3], s[18:19], s[82:83]
	s_add_nc_u64 s[8:9], s[18:19], s[84:85]
	.loc	1 171 16                        ; attention_bwd.py:171:16
	v_add_nc_u32_e32 v110, 0, v4
	v_writelane_b32 v252, s85, 8
	.loc	1 172 51                        ; attention_bwd.py:172:51
	s_wait_alu depctr_sa_sdst(0)
	v_add_co_u32 v4, vcc_lo, s2, v162
	.loc	1 171 16                        ; attention_bwd.py:171:16
	v_add_nc_u32_e32 v111, 0, v5
	v_add_nc_u32_e32 v112, 0, v6
	v_writelane_b32 v252, s88, 9
	.loc	1 172 20                        ; attention_bwd.py:172:20
	s_add_nc_u64 s[10:11], s[18:19], s[88:89]
	.loc	1 172 51 is_stmt 0              ; attention_bwd.py:172:51
	s_wait_alu depctr_va_vcc(0)
	v_add_co_ci_u32_e64 v5, null, s3, v163, vcc_lo
	v_add_co_u32 v6, vcc_lo, s8, v162
	v_writelane_b32 v252, s89, 10
	.loc	1 171 16 is_stmt 1              ; attention_bwd.py:171:16
	v_add_nc_u32_e32 v113, 0, v7
	v_add_nc_u32_e32 v106, 0, v8
	.loc	1 172 51                        ; attention_bwd.py:172:51
	s_wait_alu depctr_va_vcc(0)
	v_add_co_ci_u32_e64 v7, null, s9, v163, vcc_lo
	v_writelane_b32 v252, s90, 11
	.loc	1 172 20 is_stmt 0              ; attention_bwd.py:172:20
	s_add_nc_u64 s[16:17], s[18:19], s[90:91]
	.loc	1 172 51                        ; attention_bwd.py:172:51
	s_wait_alu depctr_sa_sdst(0)
	v_add_co_u32 v8, vcc_lo, s10, v162
	.loc	1 171 16 is_stmt 1              ; attention_bwd.py:171:16
	v_add_nc_u32_e32 v107, 0, v9
	v_writelane_b32 v252, s91, 12
	v_add_nc_u32_e32 v108, 0, v10
	.loc	1 172 51                        ; attention_bwd.py:172:51
	s_wait_alu depctr_va_vcc(0)
	v_add_co_ci_u32_e64 v9, null, s11, v163, vcc_lo
	v_add_co_u32 v10, vcc_lo, s16, v162
	v_writelane_b32 v252, s92, 13
	.loc	1 172 20 is_stmt 0              ; attention_bwd.py:172:20
	s_add_nc_u64 s[2:3], s[18:19], s[92:93]
	.loc	1 172 51                        ; attention_bwd.py:172:51
	s_wait_alu depctr_va_vcc(0)
	v_add_co_ci_u32_e64 v11, null, s17, v163, vcc_lo
	s_wait_alu depctr_sa_sdst(0)
	v_add_co_u32 v12, vcc_lo, s2, v162
	v_writelane_b32 v252, s93, 14
	s_wait_alu depctr_va_vcc(0)
	v_add_co_ci_u32_e64 v13, null, s3, v163, vcc_lo
	v_xor_b32_e32 v65, 32, v64
	.loc	1 171 16 is_stmt 1              ; attention_bwd.py:171:16
	v_add_nc_u32_e32 v100, 0, v64
	v_writelane_b32 v252, s94, 15
	.loc	1 172 20                        ; attention_bwd.py:172:20
	s_add_nc_u64 s[8:9], s[18:19], s[94:95]
	v_xor_b32_e32 v66, 64, v64
	.loc	1 172 51 is_stmt 0              ; attention_bwd.py:172:51
	s_wait_alu depctr_sa_sdst(0)
	v_add_co_u32 v14, vcc_lo, s8, v162
	v_writelane_b32 v252, s95, 16
	s_wait_alu depctr_va_vcc(0)
	v_add_co_ci_u32_e64 v15, null, s9, v163, vcc_lo
	v_xor_b32_e32 v67, 0x60, v64
	v_xor_b32_e32 v68, 0x80, v64
	v_writelane_b32 v252, s96, 17
	.loc	1 172 20                        ; attention_bwd.py:172:20
	s_add_nc_u64 s[10:11], s[18:19], s[96:97]
	v_xor_b32_e32 v97, 0xa0, v64
	.loc	1 172 51                        ; attention_bwd.py:172:51
	s_wait_alu depctr_sa_sdst(0)
	v_add_co_u32 v16, vcc_lo, s10, v162
	v_writelane_b32 v252, s97, 18
	s_wait_alu depctr_va_vcc(0)
	v_add_co_ci_u32_e64 v17, null, s11, v163, vcc_lo
	v_xor_b32_e32 v98, 0xc0, v64
	v_xor_b32_e32 v64, 0xe0, v64
	v_writelane_b32 v252, s76, 19
	.loc	1 172 20                        ; attention_bwd.py:172:20
	s_add_nc_u64 s[16:17], s[18:19], s[76:77]
	.loc	1 171 16 is_stmt 1              ; attention_bwd.py:171:16
	v_add_nc_u32_e32 v102, 0, v65
	.loc	1 172 51                        ; attention_bwd.py:172:51
	s_wait_alu depctr_sa_sdst(0)
	v_add_co_u32 v18, vcc_lo, s16, v162
	v_writelane_b32 v252, s77, 20
	s_wait_alu depctr_va_vcc(0)
	v_add_co_ci_u32_e64 v19, null, s17, v163, vcc_lo
	.loc	1 171 16                        ; attention_bwd.py:171:16
	v_add_nc_u32_e32 v101, 0, v66
	v_add_nc_u32_e32 v99, 0, v67
	v_writelane_b32 v252, s78, 21
	.loc	1 172 20                        ; attention_bwd.py:172:20
	s_add_nc_u64 s[2:3], s[18:19], s[78:79]
	.loc	1 171 16                        ; attention_bwd.py:171:16
	v_add_nc_u32_e32 v183, 0, v68
	.loc	1 172 51                        ; attention_bwd.py:172:51
	s_wait_alu depctr_sa_sdst(0)
	v_add_co_u32 v20, vcc_lo, s2, v162
	v_writelane_b32 v252, s79, 22
	s_wait_alu depctr_va_vcc(0)
	v_add_co_ci_u32_e64 v21, null, s3, v163, vcc_lo
	.loc	1 171 16                        ; attention_bwd.py:171:16
	v_add_nc_u32_e32 v182, 0, v97
	v_add_nc_u32_e32 v181, 0, v98
	v_writelane_b32 v252, s72, 23
	.loc	1 172 20                        ; attention_bwd.py:172:20
	s_add_nc_u64 s[8:9], s[18:19], s[72:73]
	.loc	1 171 16                        ; attention_bwd.py:171:16
	v_add_nc_u32_e32 v180, 0, v64
	.loc	1 172 51                        ; attention_bwd.py:172:51
	s_wait_alu depctr_sa_sdst(0)
	v_add_co_u32 v22, vcc_lo, s8, v162
	v_writelane_b32 v252, s73, 24
	s_wait_alu depctr_va_vcc(0)
	v_add_co_ci_u32_e64 v23, null, s9, v163, vcc_lo
	.loc	1 171 16                        ; attention_bwd.py:171:16
	s_wait_loadcnt 0x1f
	ds_store_b16 v100, v69
	s_wait_loadcnt 0x17
	ds_store_b16 v100, v77 offset:4096
	s_wait_loadcnt 0xf
	ds_store_b16 v100, v85 offset:8192
	;; [unrolled: 2-line block ×3, first 2 shown]
	ds_store_b16 v102, v70 offset:512
	ds_store_b16 v102, v78 offset:4608
	ds_store_b16 v102, v86 offset:8704
	s_wait_loadcnt 0x6
	ds_store_b16 v102, v94 offset:12800
	ds_store_b16 v101, v71 offset:1024
	ds_store_b16 v101, v79 offset:5120
	ds_store_b16 v101, v87 offset:9216
	s_wait_loadcnt 0x5
	ds_store_b16 v101, v95 offset:13312
	ds_store_b16 v99, v72 offset:1536
	ds_store_b16 v99, v80 offset:5632
	ds_store_b16 v99, v88 offset:9728
	s_wait_loadcnt 0x4
	ds_store_b16 v99, v96 offset:13824
	ds_store_b16 v183, v73 offset:2048
	ds_store_b16 v183, v81 offset:6144
	ds_store_b16 v183, v89 offset:10240
	s_wait_loadcnt 0x3
	ds_store_b16 v183, v60 offset:14336
	ds_store_b16 v182, v74 offset:2560
	ds_store_b16 v182, v82 offset:6656
	ds_store_b16 v182, v90 offset:10752
	s_wait_loadcnt 0x2
	ds_store_b16 v182, v61 offset:14848
	ds_store_b16 v181, v75 offset:3072
	ds_store_b16 v181, v83 offset:7168
	ds_store_b16 v181, v91 offset:11264
	s_wait_loadcnt 0x1
	ds_store_b16 v181, v62 offset:15360
	ds_store_b16 v180, v76 offset:3584
	ds_store_b16 v180, v84 offset:7680
	ds_store_b16 v180, v92 offset:11776
	s_wait_loadcnt 0x0
	ds_store_b16 v180, v63 offset:15872
	v_writelane_b32 v252, s74, 25
	.loc	1 172 20                        ; attention_bwd.py:172:20
	s_add_nc_u64 s[10:11], s[18:19], s[74:75]
	.loc	1 148 9                         ; attention_bwd.py:148:9
	s_add_nc_u64 s[82:83], s[4:5], s[12:13]
	.loc	1 172 51                        ; attention_bwd.py:172:51
	s_wait_alu depctr_sa_sdst(0)
	v_add_co_u32 v24, vcc_lo, s10, v162
	v_writelane_b32 v252, s75, 26
	s_wait_alu depctr_va_vcc(0)
	v_add_co_ci_u32_e64 v25, null, s11, v163, vcc_lo
	v_writelane_b32 v252, s70, 27
	.loc	1 172 20 is_stmt 0              ; attention_bwd.py:172:20
	s_add_nc_u64 s[16:17], s[18:19], s[70:71]
	.loc	1 172 51                        ; attention_bwd.py:172:51
	s_wait_alu depctr_sa_sdst(0)
	v_add_co_u32 v26, vcc_lo, s16, v162
	v_writelane_b32 v252, s71, 28
	s_wait_alu depctr_va_vcc(0)
	v_add_co_ci_u32_e64 v27, null, s17, v163, vcc_lo
	v_writelane_b32 v252, s68, 29
	.loc	1 172 20                        ; attention_bwd.py:172:20
	s_add_nc_u64 s[2:3], s[18:19], s[68:69]
	.loc	1 172 51                        ; attention_bwd.py:172:51
	s_wait_alu depctr_sa_sdst(0)
	v_add_co_u32 v28, vcc_lo, s2, v162
	v_writelane_b32 v252, s69, 30
	s_wait_alu depctr_va_vcc(0)
	v_add_co_ci_u32_e64 v29, null, s3, v163, vcc_lo
	v_writelane_b32 v252, s66, 31
	v_writelane_b32 v254, s67, 0
	.loc	1 172 20                        ; attention_bwd.py:172:20
	s_add_nc_u64 s[8:9], s[18:19], s[66:67]
	.loc	1 172 51                        ; attention_bwd.py:172:51
	s_wait_alu depctr_sa_sdst(0)
	v_add_co_u32 v30, vcc_lo, s8, v162
	v_writelane_b32 v254, s64, 1
	.loc	1 172 20                        ; attention_bwd.py:172:20
	s_add_nc_u64 s[10:11], s[18:19], s[64:65]
	.loc	1 172 51                        ; attention_bwd.py:172:51
	s_wait_alu depctr_va_vcc(0)
	v_add_co_ci_u32_e64 v31, null, s9, v163, vcc_lo
	s_wait_alu depctr_sa_sdst(0)
	v_add_co_u32 v32, vcc_lo, s10, v162
	v_writelane_b32 v254, s65, 2
	s_wait_alu depctr_va_vcc(0)
	v_add_co_ci_u32_e64 v33, null, s11, v163, vcc_lo
	v_writelane_b32 v254, s62, 3
	.loc	1 172 20                        ; attention_bwd.py:172:20
	s_add_nc_u64 s[16:17], s[18:19], s[62:63]
	.loc	1 172 51                        ; attention_bwd.py:172:51
	s_wait_alu depctr_sa_sdst(0)
	v_add_co_u32 v34, vcc_lo, s16, v162
	v_writelane_b32 v254, s63, 4
	s_wait_alu depctr_va_vcc(0)
	v_add_co_ci_u32_e64 v35, null, s17, v163, vcc_lo
	v_writelane_b32 v254, s60, 5
	.loc	1 172 20                        ; attention_bwd.py:172:20
	s_add_nc_u64 s[2:3], s[18:19], s[60:61]
	.loc	1 172 51                        ; attention_bwd.py:172:51
	;; [unrolled: 9-line block ×14, first 2 shown]
	s_wait_alu depctr_sa_sdst(0)
	v_add_co_u32 v60, vcc_lo, s2, v162
	v_writelane_b32 v254, s37, 30
	s_wait_alu depctr_va_vcc(0)
	v_add_co_ci_u32_e64 v61, null, s3, v163, vcc_lo
.Ltmp2:
	.loc	1 41 56 is_stmt 1               ; attention_bwd.py:41:56 @[ attention_bwd.py:200:26 ]
	s_and_b32 s2, s33, 7
	v_writelane_b32 v254, s98, 31
	v_writelane_b32 v253, s99, 0
.Ltmp3:
	.loc	1 172 20                        ; attention_bwd.py:172:20
	s_add_nc_u64 s[8:9], s[18:19], s[98:99]
.Ltmp4:
	.loc	1 41 67                         ; attention_bwd.py:41:67 @[ attention_bwd.py:200:26 ]
	s_wait_alu depctr_sa_sdst(0)
	s_mul_i32 s20, s15, s2
.Ltmp5:
	.loc	1 172 51                        ; attention_bwd.py:172:51
	v_add_co_u32 v62, vcc_lo, s8, v162
	v_writelane_b32 v253, s30, 1
	.loc	1 172 20 is_stmt 0              ; attention_bwd.py:172:20
	s_add_nc_u64 s[10:11], s[18:19], s[30:31]
	.loc	1 172 51                        ; attention_bwd.py:172:51
	s_wait_alu depctr_va_vcc(0)
	v_add_co_ci_u32_e64 v63, null, s9, v163, vcc_lo
	s_wait_alu depctr_sa_sdst(0)
	v_add_co_u32 v64, vcc_lo, s10, v162
	v_writelane_b32 v253, s31, 2
	s_wait_alu depctr_va_vcc(0)
	v_add_co_ci_u32_e64 v65, null, s11, v163, vcc_lo
.Ltmp6:
	.loc	1 41 49 is_stmt 1               ; attention_bwd.py:41:49 @[ attention_bwd.py:200:26 ]
	s_ashr_i32 s21, s20, 31
	.loc	1 47 25                         ; attention_bwd.py:47:25 @[ attention_bwd.py:200:26 ]
	s_cmp_gt_i32 vcc_hi, 31
	v_writelane_b32 v253, s28, 3
	s_cselect_b32 s3, -1, 0
	s_cmp_lt_i32 vcc_hi, 32
	v_writelane_b32 v253, s29, 4
	v_writelane_b32 v253, s18, 5
.Ltmp7:
	.loc	1 172 20                        ; attention_bwd.py:172:20
	s_add_nc_u64 s[16:17], s[18:19], s[28:29]
	.loc	1 172 51 is_stmt 0              ; attention_bwd.py:172:51
	s_wait_alu depctr_sa_sdst(0)
	v_add_co_u32 v66, vcc_lo, s16, v162
	s_wait_alu depctr_va_vcc(0)
	v_add_co_ci_u32_e64 v67, null, s17, v163, vcc_lo
	v_writelane_b32 v253, s19, 6
	.loc	1 171 16 is_stmt 1              ; attention_bwd.py:171:16
	s_wait_dscnt 0x0
	s_barrier_signal -1
	s_barrier_wait -1
	global_inv scope:SCOPE_SE
	ds_load_b128 v[248:251], v128
	ds_load_b128 v[188:191], v111
	.loc	1 172 16                        ; attention_bwd.py:172:16
	s_clause 0x7
	global_load_u16 v68, v[4:5], off
	global_load_u16 v6, v[6:7], off
	global_load_u16 v7, v[8:9], off
	global_load_u16 v8, v[10:11], off
	global_load_u16 v9, v[12:13], off
	global_load_u16 v10, v[14:15], off
	global_load_u16 v11, v[16:17], off
	global_load_u16 v12, v[18:19], off
	.loc	1 171 16                        ; attention_bwd.py:171:16
	ds_load_b128 v[176:179], v112
	ds_load_b128 v[168:171], v113
	.loc	1 172 16                        ; attention_bwd.py:172:16
	s_clause 0x7
	global_load_u16 v13, v[20:21], off
	global_load_u16 v14, v[22:23], off
	global_load_u16 v15, v[24:25], off
	global_load_u16 v16, v[26:27], off
	global_load_u16 v17, v[28:29], off
	global_load_u16 v18, v[30:31], off
	global_load_u16 v19, v[32:33], off
	global_load_u16 v20, v[34:35], off
	.loc	1 171 16                        ; attention_bwd.py:171:16
	;; [unrolled: 13-line block ×3, first 2 shown]
	ds_load_b128 v[164:167], v108
	ds_load_b128 v[144:147], v110
	.loc	1 172 16                        ; attention_bwd.py:172:16
	s_clause 0x7
	global_load_u16 v29, v[52:53], off
	global_load_u16 v30, v[54:55], off
	;; [unrolled: 1-line block ×8, first 2 shown]
.Ltmp8:
	.loc	1 41 36                         ; attention_bwd.py:41:36 @[ attention_bwd.py:200:26 ]
	v_mul_lo_u32 v4, s14, v3
	v_mov_b32_e32 v3, 0
	s_delay_alu instid0(VALU_DEP_2) | instskip(NEXT) | instid1(VALU_DEP_1)
	.loc	1 41 18 is_stmt 0               ; attention_bwd.py:41:18 @[ attention_bwd.py:200:26 ]
	v_ashrrev_i32_e32 v5, 31, v4
	v_lshlrev_b64_e32 v[205:206], 1, v[4:5]
	v_mov_b32_e32 v4, 0
.Ltmp9:
	.loc	1 172 16 is_stmt 1              ; attention_bwd.py:172:16
	s_wait_loadcnt_dscnt 0x0
	s_barrier_signal -1
	s_barrier_wait -1
	global_inv scope:SCOPE_SE
	ds_store_b16 v100, v68
	ds_store_b16 v100, v13 offset:4096
	ds_store_b16 v100, v21 offset:8192
	s_clause 0x3                            ; 16-byte Folded Spill
	scratch_store_b32 off, v100, off offset:888
	scratch_store_b32 off, v102, off offset:896
	;; [unrolled: 1-line block ×4, first 2 shown]
	ds_store_b16 v100, v29 offset:12288
	ds_store_b16 v102, v6 offset:512
	;; [unrolled: 1-line block ×29, first 2 shown]
	s_wait_storecnt 0x0
	s_wait_loadcnt_dscnt 0x0
	s_barrier_signal -1
.Ltmp10:
	.loc	1 41 18                         ; attention_bwd.py:41:18 @[ attention_bwd.py:200:26 ]
	v_add_co_u32 v19, vcc_lo, s82, v205
	s_wait_alu depctr_va_vcc(0)
	v_add_co_ci_u32_e64 v20, null, s83, v206, vcc_lo
.Ltmp11:
	.loc	1 172 16                        ; attention_bwd.py:172:16
	s_barrier_wait -1
	global_inv scope:SCOPE_SE
.Ltmp12:
	.loc	1 48 21                         ; attention_bwd.py:48:21 @[ attention_bwd.py:200:26 ]
	s_cbranch_scc1 .LBB0_2
; %bb.1:
	.loc	1 41 49                         ; attention_bwd.py:41:49 @[ attention_bwd.py:200:26 ]
	s_lshl_b64 s[8:9], s[20:21], 1
	s_wait_alu depctr_sa_sdst(0)
	v_add_co_u32 v4, vcc_lo, v19, s8
	s_wait_alu depctr_va_vcc(0)
	v_add_co_ci_u32_e64 v5, null, s9, v20, vcc_lo
	.loc	1 48 21                         ; attention_bwd.py:48:21 @[ attention_bwd.py:200:26 ]
	global_load_u16 v4, v[4:5], off
.LBB0_2:
	v_cndmask_b32_e64 v5, 0, 1, s3
	.loc	1 41 67                         ; attention_bwd.py:41:67 @[ attention_bwd.py:200:26 ]
	s_lshl3_add_u32 s28, s15, s20
	.loc	1 48 21                         ; attention_bwd.py:48:21 @[ attention_bwd.py:200:26 ]
	s_and_not1_b32 vcc_lo, exec_lo, s3
	.loc	1 41 49                         ; attention_bwd.py:41:49 @[ attention_bwd.py:200:26 ]
	s_wait_alu depctr_sa_sdst(0)
	s_ashr_i32 s29, s28, 31
	.loc	1 48 21                         ; attention_bwd.py:48:21 @[ attention_bwd.py:200:26 ]
	v_cmp_ne_u32_e64 s2, 1, v5
	s_cbranch_vccnz .LBB0_4
; %bb.3:
	.loc	1 41 49                         ; attention_bwd.py:41:49 @[ attention_bwd.py:200:26 ]
	s_wait_alu depctr_sa_sdst(0)
	s_lshl_b64 s[8:9], s[28:29], 1
	s_wait_alu depctr_sa_sdst(0)
	v_add_co_u32 v5, vcc_lo, v19, s8
	s_wait_alu depctr_va_vcc(0)
	v_add_co_ci_u32_e64 v6, null, s9, v20, vcc_lo
	.loc	1 48 21                         ; attention_bwd.py:48:21 @[ attention_bwd.py:200:26 ]
	global_load_u16 v3, v[5:6], off
.LBB0_4:
	.loc	1 0 21 is_stmt 0                ; attention_bwd.py:0:21
	v_dual_mov_b32 v5, 0 :: v_dual_mov_b32 v6, 0
	.loc	1 41 67 is_stmt 1               ; attention_bwd.py:41:67 @[ attention_bwd.py:200:26 ]
	s_lshl4_add_u32 s30, s15, s20
	.loc	1 48 21                         ; attention_bwd.py:48:21 @[ attention_bwd.py:200:26 ]
	s_and_b32 vcc_lo, exec_lo, s2
	.loc	1 41 49                         ; attention_bwd.py:41:49 @[ attention_bwd.py:200:26 ]
	s_wait_alu depctr_sa_sdst(0)
	s_ashr_i32 s31, s30, 31
	.loc	1 48 21                         ; attention_bwd.py:48:21 @[ attention_bwd.py:200:26 ]
	s_cbranch_vccnz .LBB0_6
; %bb.5:
	.loc	1 41 49                         ; attention_bwd.py:41:49 @[ attention_bwd.py:200:26 ]
	s_wait_alu depctr_sa_sdst(0)
	s_lshl_b64 s[8:9], s[30:31], 1
	s_wait_alu depctr_sa_sdst(0)
	v_add_co_u32 v6, vcc_lo, v19, s8
	s_wait_alu depctr_va_vcc(0)
	v_add_co_ci_u32_e64 v7, null, s9, v20, vcc_lo
	.loc	1 48 21                         ; attention_bwd.py:48:21 @[ attention_bwd.py:200:26 ]
	global_load_u16 v6, v[6:7], off
.LBB0_6:
	.loc	1 41 67                         ; attention_bwd.py:41:67 @[ attention_bwd.py:200:26 ]
	s_mul_i32 s8, s15, 24
	.loc	1 48 21                         ; attention_bwd.py:48:21 @[ attention_bwd.py:200:26 ]
	s_and_b32 vcc_lo, exec_lo, s2
	.loc	1 41 67                         ; attention_bwd.py:41:67 @[ attention_bwd.py:200:26 ]
	s_wait_alu depctr_sa_sdst(0)
	s_add_co_i32 s36, s20, s8
	.loc	1 41 49 is_stmt 0               ; attention_bwd.py:41:49 @[ attention_bwd.py:200:26 ]
	s_wait_alu depctr_sa_sdst(0)
	s_ashr_i32 s37, s36, 31
	.loc	1 48 21 is_stmt 1               ; attention_bwd.py:48:21 @[ attention_bwd.py:200:26 ]
	s_cbranch_vccnz .LBB0_8
; %bb.7:
	.loc	1 41 49                         ; attention_bwd.py:41:49 @[ attention_bwd.py:200:26 ]
	s_wait_alu depctr_sa_sdst(0)
	s_lshl_b64 s[8:9], s[36:37], 1
	s_wait_alu depctr_sa_sdst(0)
	v_add_co_u32 v7, vcc_lo, v19, s8
	s_wait_alu depctr_va_vcc(0)
	v_add_co_ci_u32_e64 v8, null, s9, v20, vcc_lo
	.loc	1 48 21                         ; attention_bwd.py:48:21 @[ attention_bwd.py:200:26 ]
	global_load_u16 v5, v[7:8], off
.LBB0_8:
	.loc	1 41 67                         ; attention_bwd.py:41:67 @[ attention_bwd.py:200:26 ]
	s_lshl_b32 s8, s15, 5
	v_dual_mov_b32 v7, 0 :: v_dual_mov_b32 v8, 0
	s_wait_alu depctr_sa_sdst(0)
	s_add_co_i32 s38, s20, s8
	.loc	1 48 21                         ; attention_bwd.py:48:21 @[ attention_bwd.py:200:26 ]
	s_and_b32 vcc_lo, exec_lo, s2
	.loc	1 41 49                         ; attention_bwd.py:41:49 @[ attention_bwd.py:200:26 ]
	s_wait_alu depctr_sa_sdst(0)
	s_ashr_i32 s39, s38, 31
	.loc	1 48 21                         ; attention_bwd.py:48:21 @[ attention_bwd.py:200:26 ]
	s_cbranch_vccnz .LBB0_10
; %bb.9:
	.loc	1 41 49                         ; attention_bwd.py:41:49 @[ attention_bwd.py:200:26 ]
	s_wait_alu depctr_sa_sdst(0)
	s_lshl_b64 s[8:9], s[38:39], 1
	s_wait_alu depctr_sa_sdst(0)
	v_add_co_u32 v8, vcc_lo, v19, s8
	s_wait_alu depctr_va_vcc(0)
	v_add_co_ci_u32_e64 v9, null, s9, v20, vcc_lo
	.loc	1 48 21                         ; attention_bwd.py:48:21 @[ attention_bwd.py:200:26 ]
	global_load_u16 v8, v[8:9], off
.LBB0_10:
	.loc	1 41 67                         ; attention_bwd.py:41:67 @[ attention_bwd.py:200:26 ]
	s_mul_i32 s8, s15, 40
	.loc	1 48 21                         ; attention_bwd.py:48:21 @[ attention_bwd.py:200:26 ]
	s_and_b32 vcc_lo, exec_lo, s2
	.loc	1 41 67                         ; attention_bwd.py:41:67 @[ attention_bwd.py:200:26 ]
	s_wait_alu depctr_sa_sdst(0)
	s_add_co_i32 s40, s20, s8
	.loc	1 41 49 is_stmt 0               ; attention_bwd.py:41:49 @[ attention_bwd.py:200:26 ]
	s_wait_alu depctr_sa_sdst(0)
	s_ashr_i32 s41, s40, 31
	.loc	1 48 21 is_stmt 1               ; attention_bwd.py:48:21 @[ attention_bwd.py:200:26 ]
	s_cbranch_vccnz .LBB0_12
; %bb.11:
	.loc	1 41 49                         ; attention_bwd.py:41:49 @[ attention_bwd.py:200:26 ]
	s_wait_alu depctr_sa_sdst(0)
	s_lshl_b64 s[8:9], s[40:41], 1
	s_wait_alu depctr_sa_sdst(0)
	v_add_co_u32 v9, vcc_lo, v19, s8
	s_wait_alu depctr_va_vcc(0)
	v_add_co_ci_u32_e64 v10, null, s9, v20, vcc_lo
	.loc	1 48 21                         ; attention_bwd.py:48:21 @[ attention_bwd.py:200:26 ]
	global_load_u16 v7, v[9:10], off
.LBB0_12:
	.loc	1 41 67                         ; attention_bwd.py:41:67 @[ attention_bwd.py:200:26 ]
	s_mul_i32 s8, s15, 48
	v_dual_mov_b32 v9, 0 :: v_dual_mov_b32 v10, 0
	s_wait_alu depctr_sa_sdst(0)
	s_add_co_i32 s10, s20, s8
	.loc	1 48 21                         ; attention_bwd.py:48:21 @[ attention_bwd.py:200:26 ]
	s_and_b32 vcc_lo, exec_lo, s2
	.loc	1 41 49                         ; attention_bwd.py:41:49 @[ attention_bwd.py:200:26 ]
	s_wait_alu depctr_sa_sdst(0)
	s_ashr_i32 s11, s10, 31
	.loc	1 48 21                         ; attention_bwd.py:48:21 @[ attention_bwd.py:200:26 ]
	s_cbranch_vccnz .LBB0_14
; %bb.13:
	.loc	1 41 49                         ; attention_bwd.py:41:49 @[ attention_bwd.py:200:26 ]
	s_wait_alu depctr_sa_sdst(0)
	s_lshl_b64 s[8:9], s[10:11], 1
	s_wait_alu depctr_sa_sdst(0)
	v_add_co_u32 v10, vcc_lo, v19, s8
	s_wait_alu depctr_va_vcc(0)
	v_add_co_ci_u32_e64 v11, null, s9, v20, vcc_lo
	.loc	1 48 21                         ; attention_bwd.py:48:21 @[ attention_bwd.py:200:26 ]
	global_load_u16 v10, v[10:11], off
.LBB0_14:
	.loc	1 41 67                         ; attention_bwd.py:41:67 @[ attention_bwd.py:200:26 ]
	s_mul_i32 s8, s15, 56
	.loc	1 48 21                         ; attention_bwd.py:48:21 @[ attention_bwd.py:200:26 ]
	s_and_b32 vcc_lo, exec_lo, s2
	.loc	1 41 67                         ; attention_bwd.py:41:67 @[ attention_bwd.py:200:26 ]
	s_wait_alu depctr_sa_sdst(0)
	s_add_co_i32 s16, s20, s8
	.loc	1 41 49 is_stmt 0               ; attention_bwd.py:41:49 @[ attention_bwd.py:200:26 ]
	s_wait_alu depctr_sa_sdst(0)
	s_ashr_i32 s17, s16, 31
	.loc	1 48 21 is_stmt 1               ; attention_bwd.py:48:21 @[ attention_bwd.py:200:26 ]
	s_cbranch_vccnz .LBB0_16
; %bb.15:
	.loc	1 41 49                         ; attention_bwd.py:41:49 @[ attention_bwd.py:200:26 ]
	s_wait_alu depctr_sa_sdst(0)
	s_lshl_b64 s[8:9], s[16:17], 1
	s_wait_alu depctr_sa_sdst(0)
	v_add_co_u32 v11, vcc_lo, v19, s8
	s_wait_alu depctr_va_vcc(0)
	v_add_co_ci_u32_e64 v12, null, s9, v20, vcc_lo
	.loc	1 48 21                         ; attention_bwd.py:48:21 @[ attention_bwd.py:200:26 ]
	global_load_u16 v9, v[11:12], off
.LBB0_16:
	.loc	1 41 67                         ; attention_bwd.py:41:67 @[ attention_bwd.py:200:26 ]
	s_lshl_b32 s8, s15, 6
	v_dual_mov_b32 v11, 0 :: v_dual_mov_b32 v12, 0
	s_wait_alu depctr_sa_sdst(0)
	s_add_co_i32 s18, s20, s8
	.loc	1 48 21                         ; attention_bwd.py:48:21 @[ attention_bwd.py:200:26 ]
	s_and_b32 vcc_lo, exec_lo, s2
	.loc	1 41 49                         ; attention_bwd.py:41:49 @[ attention_bwd.py:200:26 ]
	s_wait_alu depctr_sa_sdst(0)
	s_ashr_i32 s19, s18, 31
	.loc	1 48 21                         ; attention_bwd.py:48:21 @[ attention_bwd.py:200:26 ]
	s_cbranch_vccnz .LBB0_18
; %bb.17:
	.loc	1 41 49                         ; attention_bwd.py:41:49 @[ attention_bwd.py:200:26 ]
	s_wait_alu depctr_sa_sdst(0)
	s_lshl_b64 s[8:9], s[18:19], 1
	s_wait_alu depctr_sa_sdst(0)
	v_add_co_u32 v12, vcc_lo, v19, s8
	s_wait_alu depctr_va_vcc(0)
	v_add_co_ci_u32_e64 v13, null, s9, v20, vcc_lo
	.loc	1 48 21                         ; attention_bwd.py:48:21 @[ attention_bwd.py:200:26 ]
	global_load_u16 v12, v[12:13], off
.LBB0_18:
	.loc	1 41 67                         ; attention_bwd.py:41:67 @[ attention_bwd.py:200:26 ]
	s_mul_i32 s8, s15, 0x48
	.loc	1 48 21                         ; attention_bwd.py:48:21 @[ attention_bwd.py:200:26 ]
	s_and_b32 vcc_lo, exec_lo, s2
	.loc	1 41 67                         ; attention_bwd.py:41:67 @[ attention_bwd.py:200:26 ]
	s_wait_alu depctr_sa_sdst(0)
	s_add_co_i32 s26, s20, s8
	.loc	1 41 49 is_stmt 0               ; attention_bwd.py:41:49 @[ attention_bwd.py:200:26 ]
	s_wait_alu depctr_sa_sdst(0)
	s_ashr_i32 s27, s26, 31
	.loc	1 48 21 is_stmt 1               ; attention_bwd.py:48:21 @[ attention_bwd.py:200:26 ]
	s_cbranch_vccnz .LBB0_20
; %bb.19:
	.loc	1 41 49                         ; attention_bwd.py:41:49 @[ attention_bwd.py:200:26 ]
	s_wait_alu depctr_sa_sdst(0)
	s_lshl_b64 s[8:9], s[26:27], 1
	s_wait_alu depctr_sa_sdst(0)
	v_add_co_u32 v13, vcc_lo, v19, s8
	s_wait_alu depctr_va_vcc(0)
	v_add_co_ci_u32_e64 v14, null, s9, v20, vcc_lo
	.loc	1 48 21                         ; attention_bwd.py:48:21 @[ attention_bwd.py:200:26 ]
	global_load_u16 v11, v[13:14], off
.LBB0_20:
	.loc	1 41 67                         ; attention_bwd.py:41:67 @[ attention_bwd.py:200:26 ]
	s_mul_i32 s8, s15, 0x50
	v_dual_mov_b32 v13, 0 :: v_dual_mov_b32 v14, 0
	s_wait_alu depctr_sa_sdst(0)
	s_add_co_i32 s42, s20, s8
	.loc	1 48 21                         ; attention_bwd.py:48:21 @[ attention_bwd.py:200:26 ]
	s_and_b32 vcc_lo, exec_lo, s2
	.loc	1 41 49                         ; attention_bwd.py:41:49 @[ attention_bwd.py:200:26 ]
	s_wait_alu depctr_sa_sdst(0)
	s_ashr_i32 s43, s42, 31
	.loc	1 48 21                         ; attention_bwd.py:48:21 @[ attention_bwd.py:200:26 ]
	s_cbranch_vccnz .LBB0_22
; %bb.21:
	.loc	1 41 49                         ; attention_bwd.py:41:49 @[ attention_bwd.py:200:26 ]
	s_wait_alu depctr_sa_sdst(0)
	s_lshl_b64 s[8:9], s[42:43], 1
	s_wait_alu depctr_sa_sdst(0)
	v_add_co_u32 v14, vcc_lo, v19, s8
	s_wait_alu depctr_va_vcc(0)
	v_add_co_ci_u32_e64 v15, null, s9, v20, vcc_lo
	.loc	1 48 21                         ; attention_bwd.py:48:21 @[ attention_bwd.py:200:26 ]
	global_load_u16 v14, v[14:15], off
.LBB0_22:
	.loc	1 41 67                         ; attention_bwd.py:41:67 @[ attention_bwd.py:200:26 ]
	s_mul_i32 s8, s15, 0x58
	.loc	1 48 21                         ; attention_bwd.py:48:21 @[ attention_bwd.py:200:26 ]
	s_and_b32 vcc_lo, exec_lo, s2
	.loc	1 41 67                         ; attention_bwd.py:41:67 @[ attention_bwd.py:200:26 ]
	s_wait_alu depctr_sa_sdst(0)
	s_add_co_i32 s44, s20, s8
	.loc	1 41 49 is_stmt 0               ; attention_bwd.py:41:49 @[ attention_bwd.py:200:26 ]
	s_wait_alu depctr_sa_sdst(0)
	s_ashr_i32 s45, s44, 31
	.loc	1 48 21 is_stmt 1               ; attention_bwd.py:48:21 @[ attention_bwd.py:200:26 ]
	s_cbranch_vccnz .LBB0_24
; %bb.23:
	.loc	1 41 49                         ; attention_bwd.py:41:49 @[ attention_bwd.py:200:26 ]
	s_wait_alu depctr_sa_sdst(0)
	s_lshl_b64 s[8:9], s[44:45], 1
	s_wait_alu depctr_sa_sdst(0)
	v_add_co_u32 v15, vcc_lo, v19, s8
	s_wait_alu depctr_va_vcc(0)
	v_add_co_ci_u32_e64 v16, null, s9, v20, vcc_lo
	.loc	1 48 21                         ; attention_bwd.py:48:21 @[ attention_bwd.py:200:26 ]
	global_load_u16 v13, v[15:16], off
.LBB0_24:
	.loc	1 41 67                         ; attention_bwd.py:41:67 @[ attention_bwd.py:200:26 ]
	s_mul_i32 s8, s15, 0x60
	;; [unrolled: 46-line block ×3, first 2 shown]
	v_dual_mov_b32 v17, 0 :: v_dual_mov_b32 v18, 0
	s_wait_alu depctr_sa_sdst(0)
	s_add_co_i32 s50, s20, s8
	.loc	1 48 21                         ; attention_bwd.py:48:21 @[ attention_bwd.py:200:26 ]
	s_and_b32 vcc_lo, exec_lo, s2
	.loc	1 41 49                         ; attention_bwd.py:41:49 @[ attention_bwd.py:200:26 ]
	s_wait_alu depctr_sa_sdst(0)
	s_ashr_i32 s51, s50, 31
	.loc	1 48 21                         ; attention_bwd.py:48:21 @[ attention_bwd.py:200:26 ]
	s_cbranch_vccnz .LBB0_30
; %bb.29:
	.loc	1 41 49                         ; attention_bwd.py:41:49 @[ attention_bwd.py:200:26 ]
	s_wait_alu depctr_sa_sdst(0)
	s_lshl_b64 s[8:9], s[50:51], 1
	s_wait_alu depctr_sa_sdst(0)
	v_add_co_u32 v21, vcc_lo, v19, s8
	s_wait_alu depctr_va_vcc(0)
	v_add_co_ci_u32_e64 v22, null, s9, v20, vcc_lo
	.loc	1 48 21                         ; attention_bwd.py:48:21 @[ attention_bwd.py:200:26 ]
	global_load_u16 v18, v[21:22], off
.LBB0_30:
	.loc	1 0 21 is_stmt 0                ; attention_bwd.py:0:21
	s_load_b64 s[98:99], s[0:1], 0x20
	.loc	1 41 67 is_stmt 1               ; attention_bwd.py:41:67 @[ attention_bwd.py:200:26 ]
	s_mul_i32 s8, s15, 0x78
	.loc	1 48 21                         ; attention_bwd.py:48:21 @[ attention_bwd.py:200:26 ]
	s_and_b32 vcc_lo, exec_lo, s2
	.loc	1 41 67                         ; attention_bwd.py:41:67 @[ attention_bwd.py:200:26 ]
	s_wait_alu depctr_sa_sdst(0)
	s_add_co_i32 s52, s20, s8
	.loc	1 41 49 is_stmt 0               ; attention_bwd.py:41:49 @[ attention_bwd.py:200:26 ]
	s_wait_alu depctr_sa_sdst(0)
	s_ashr_i32 s53, s52, 31
	.loc	1 48 21 is_stmt 1               ; attention_bwd.py:48:21 @[ attention_bwd.py:200:26 ]
	s_cbranch_vccnz .LBB0_32
; %bb.31:
	.loc	1 41 49                         ; attention_bwd.py:41:49 @[ attention_bwd.py:200:26 ]
	s_wait_alu depctr_sa_sdst(0)
	s_lshl_b64 s[8:9], s[52:53], 1
	s_wait_alu depctr_sa_sdst(0)
	v_add_co_u32 v19, vcc_lo, v19, s8
	s_wait_alu depctr_va_vcc(0)
	v_add_co_ci_u32_e64 v20, null, s9, v20, vcc_lo
	.loc	1 48 21                         ; attention_bwd.py:48:21 @[ attention_bwd.py:200:26 ]
	global_load_u16 v17, v[19:20], off
.LBB0_32:
	.loc	1 0 21 is_stmt 0                ; attention_bwd.py:0:21
	v_dual_mov_b32 v19, 0 :: v_dual_mov_b32 v20, 0
	.loc	1 42 37 is_stmt 1               ; attention_bwd.py:42:37 @[ attention_bwd.py:200:26 ]
	s_mul_i32 s88, s14, s86
.Ltmp13:
	.loc	1 151 10                        ; attention_bwd.py:151:10
	s_wait_kmcnt 0x0
	s_add_nc_u64 s[84:85], s[98:99], s[12:13]
.Ltmp14:
	.loc	1 58 21                         ; attention_bwd.py:58:21 @[ attention_bwd.py:200:26 ]
	s_and_b32 vcc_lo, exec_lo, s2
	.loc	1 42 19                         ; attention_bwd.py:42:19 @[ attention_bwd.py:200:26 ]
	s_wait_alu depctr_sa_sdst(0)
	s_ashr_i32 s89, s88, 31
	.loc	1 58 21                         ; attention_bwd.py:58:21 @[ attention_bwd.py:200:26 ]
	s_cbranch_vccnz .LBB0_34
; %bb.33:
	.loc	1 42 19                         ; attention_bwd.py:42:19 @[ attention_bwd.py:200:26 ]
	s_wait_alu depctr_sa_sdst(0)
	s_lshl_b64 s[8:9], s[88:89], 1
	s_wait_alu depctr_sa_sdst(0)
	s_add_nc_u64 s[8:9], s[84:85], s[8:9]
	.loc	1 42 50 is_stmt 0               ; attention_bwd.py:42:50 @[ attention_bwd.py:200:26 ]
	s_wait_alu depctr_sa_sdst(0)
	v_add_co_u32 v20, vcc_lo, s8, v162
	s_wait_alu depctr_va_vcc(0)
	v_add_co_ci_u32_e64 v21, null, s9, v163, vcc_lo
	.loc	1 58 21 is_stmt 1               ; attention_bwd.py:58:21 @[ attention_bwd.py:200:26 ]
	global_load_u16 v20, v[20:21], off
.LBB0_34:
	.loc	1 42 37                         ; attention_bwd.py:42:37 @[ attention_bwd.py:200:26 ]
	s_lshl1_add_u32 s92, s14, s88
	.loc	1 58 21                         ; attention_bwd.py:58:21 @[ attention_bwd.py:200:26 ]
	s_and_b32 vcc_lo, exec_lo, s2
	.loc	1 42 19                         ; attention_bwd.py:42:19 @[ attention_bwd.py:200:26 ]
	s_wait_alu depctr_sa_sdst(0)
	s_ashr_i32 s93, s92, 31
	.loc	1 58 21                         ; attention_bwd.py:58:21 @[ attention_bwd.py:200:26 ]
	s_cbranch_vccnz .LBB0_36
; %bb.35:
	.loc	1 42 19                         ; attention_bwd.py:42:19 @[ attention_bwd.py:200:26 ]
	s_wait_alu depctr_sa_sdst(0)
	s_lshl_b64 s[8:9], s[92:93], 1
	s_wait_alu depctr_sa_sdst(0)
	s_add_nc_u64 s[8:9], s[84:85], s[8:9]
	.loc	1 42 50 is_stmt 0               ; attention_bwd.py:42:50 @[ attention_bwd.py:200:26 ]
	s_wait_alu depctr_sa_sdst(0)
	v_add_co_u32 v21, vcc_lo, s8, v162
	s_wait_alu depctr_va_vcc(0)
	v_add_co_ci_u32_e64 v22, null, s9, v163, vcc_lo
	.loc	1 58 21 is_stmt 1               ; attention_bwd.py:58:21 @[ attention_bwd.py:200:26 ]
	global_load_u16 v19, v[21:22], off
.LBB0_36:
	.loc	1 0 21 is_stmt 0                ; attention_bwd.py:0:21
	v_dual_mov_b32 v21, 0 :: v_dual_mov_b32 v22, 0
	.loc	1 42 37 is_stmt 1               ; attention_bwd.py:42:37 @[ attention_bwd.py:200:26 ]
	s_lshl2_add_u32 s94, s14, s88
	.loc	1 58 21                         ; attention_bwd.py:58:21 @[ attention_bwd.py:200:26 ]
	s_and_b32 vcc_lo, exec_lo, s2
	.loc	1 42 19                         ; attention_bwd.py:42:19 @[ attention_bwd.py:200:26 ]
	s_wait_alu depctr_sa_sdst(0)
	s_ashr_i32 s95, s94, 31
	.loc	1 58 21                         ; attention_bwd.py:58:21 @[ attention_bwd.py:200:26 ]
	s_cbranch_vccnz .LBB0_38
; %bb.37:
	.loc	1 42 19                         ; attention_bwd.py:42:19 @[ attention_bwd.py:200:26 ]
	s_wait_alu depctr_sa_sdst(0)
	s_lshl_b64 s[8:9], s[94:95], 1
	s_wait_alu depctr_sa_sdst(0)
	s_add_nc_u64 s[8:9], s[84:85], s[8:9]
	.loc	1 42 50 is_stmt 0               ; attention_bwd.py:42:50 @[ attention_bwd.py:200:26 ]
	s_wait_alu depctr_sa_sdst(0)
	v_add_co_u32 v22, vcc_lo, s8, v162
	s_wait_alu depctr_va_vcc(0)
	v_add_co_ci_u32_e64 v23, null, s9, v163, vcc_lo
	.loc	1 58 21 is_stmt 1               ; attention_bwd.py:58:21 @[ attention_bwd.py:200:26 ]
	global_load_u16 v22, v[22:23], off
.LBB0_38:
	.loc	1 42 37                         ; attention_bwd.py:42:37 @[ attention_bwd.py:200:26 ]
	s_mul_i32 s8, s14, 6
	.loc	1 58 21                         ; attention_bwd.py:58:21 @[ attention_bwd.py:200:26 ]
	s_and_b32 vcc_lo, exec_lo, s2
	.loc	1 42 37                         ; attention_bwd.py:42:37 @[ attention_bwd.py:200:26 ]
	s_wait_alu depctr_sa_sdst(0)
	s_add_co_i32 s96, s88, s8
	.loc	1 42 19 is_stmt 0               ; attention_bwd.py:42:19 @[ attention_bwd.py:200:26 ]
	s_wait_alu depctr_sa_sdst(0)
	s_ashr_i32 s97, s96, 31
	.loc	1 58 21 is_stmt 1               ; attention_bwd.py:58:21 @[ attention_bwd.py:200:26 ]
	s_cbranch_vccnz .LBB0_40
; %bb.39:
	.loc	1 42 19                         ; attention_bwd.py:42:19 @[ attention_bwd.py:200:26 ]
	s_wait_alu depctr_sa_sdst(0)
	s_lshl_b64 s[8:9], s[96:97], 1
	s_wait_alu depctr_sa_sdst(0)
	s_add_nc_u64 s[8:9], s[84:85], s[8:9]
	.loc	1 42 50 is_stmt 0               ; attention_bwd.py:42:50 @[ attention_bwd.py:200:26 ]
	s_wait_alu depctr_sa_sdst(0)
	v_add_co_u32 v23, vcc_lo, s8, v162
	s_wait_alu depctr_va_vcc(0)
	v_add_co_ci_u32_e64 v24, null, s9, v163, vcc_lo
	.loc	1 58 21 is_stmt 1               ; attention_bwd.py:58:21 @[ attention_bwd.py:200:26 ]
	global_load_u16 v21, v[23:24], off
.LBB0_40:
	.loc	1 0 21 is_stmt 0                ; attention_bwd.py:0:21
	v_dual_mov_b32 v23, 0 :: v_dual_mov_b32 v24, 0
	.loc	1 42 37 is_stmt 1               ; attention_bwd.py:42:37 @[ attention_bwd.py:200:26 ]
	s_lshl3_add_u32 s100, s14, s88
	.loc	1 58 21                         ; attention_bwd.py:58:21 @[ attention_bwd.py:200:26 ]
	s_and_b32 vcc_lo, exec_lo, s2
	.loc	1 42 19                         ; attention_bwd.py:42:19 @[ attention_bwd.py:200:26 ]
	s_ashr_i32 s101, s100, 31
	.loc	1 58 21                         ; attention_bwd.py:58:21 @[ attention_bwd.py:200:26 ]
	s_wait_alu depctr_sa_sdst(0)
	s_cbranch_vccnz .LBB0_42
; %bb.41:
	.loc	1 42 19                         ; attention_bwd.py:42:19 @[ attention_bwd.py:200:26 ]
	s_lshl_b64 s[8:9], s[100:101], 1
	s_wait_alu depctr_sa_sdst(0)
	s_add_nc_u64 s[8:9], s[84:85], s[8:9]
	.loc	1 42 50 is_stmt 0               ; attention_bwd.py:42:50 @[ attention_bwd.py:200:26 ]
	s_wait_alu depctr_sa_sdst(0)
	v_add_co_u32 v24, vcc_lo, s8, v162
	s_wait_alu depctr_va_vcc(0)
	v_add_co_ci_u32_e64 v25, null, s9, v163, vcc_lo
	.loc	1 58 21 is_stmt 1               ; attention_bwd.py:58:21 @[ attention_bwd.py:200:26 ]
	global_load_u16 v24, v[24:25], off
.LBB0_42:
	.loc	1 0 21 is_stmt 0                ; attention_bwd.py:0:21
	v_writelane_b32 v253, s52, 7
	.loc	1 42 37 is_stmt 1               ; attention_bwd.py:42:37 @[ attention_bwd.py:200:26 ]
	s_mul_i32 s8, s14, 10
	.loc	1 58 21                         ; attention_bwd.py:58:21 @[ attention_bwd.py:200:26 ]
	s_and_b32 vcc_lo, exec_lo, s2
	.loc	1 42 37                         ; attention_bwd.py:42:37 @[ attention_bwd.py:200:26 ]
	s_wait_alu depctr_sa_sdst(0)
	s_add_co_i32 s102, s88, s8
	s_delay_alu instid0(SALU_CYCLE_1)
	.loc	1 42 19 is_stmt 0               ; attention_bwd.py:42:19 @[ attention_bwd.py:200:26 ]
	s_ashr_i32 s103, s102, 31
	v_writelane_b32 v253, s53, 8
	v_writelane_b32 v253, s42, 9
	;; [unrolled: 1-line block ×5, first 2 shown]
	.loc	1 58 21 is_stmt 1               ; attention_bwd.py:58:21 @[ attention_bwd.py:200:26 ]
	s_cbranch_vccnz .LBB0_44
; %bb.43:
	.loc	1 42 19                         ; attention_bwd.py:42:19 @[ attention_bwd.py:200:26 ]
	s_lshl_b64 s[8:9], s[102:103], 1
	s_wait_alu depctr_sa_sdst(0)
	s_add_nc_u64 s[8:9], s[84:85], s[8:9]
	.loc	1 42 50 is_stmt 0               ; attention_bwd.py:42:50 @[ attention_bwd.py:200:26 ]
	s_wait_alu depctr_sa_sdst(0)
	v_add_co_u32 v25, vcc_lo, s8, v162
	s_wait_alu depctr_va_vcc(0)
	v_add_co_ci_u32_e64 v26, null, s9, v163, vcc_lo
	.loc	1 58 21 is_stmt 1               ; attention_bwd.py:58:21 @[ attention_bwd.py:200:26 ]
	global_load_u16 v23, v[25:26], off
.LBB0_44:
	.loc	1 42 37                         ; attention_bwd.py:42:37 @[ attention_bwd.py:200:26 ]
	s_mul_i32 s8, s14, 12
	v_dual_mov_b32 v25, 0 :: v_dual_mov_b32 v26, 0
	s_wait_alu depctr_sa_sdst(0)
	s_add_co_i32 s54, s88, s8
	.loc	1 58 21                         ; attention_bwd.py:58:21 @[ attention_bwd.py:200:26 ]
	s_and_b32 vcc_lo, exec_lo, s2
	.loc	1 42 19                         ; attention_bwd.py:42:19 @[ attention_bwd.py:200:26 ]
	s_wait_alu depctr_sa_sdst(0)
	s_ashr_i32 s55, s54, 31
	.loc	1 58 21                         ; attention_bwd.py:58:21 @[ attention_bwd.py:200:26 ]
	s_cbranch_vccnz .LBB0_46
; %bb.45:
	.loc	1 42 19                         ; attention_bwd.py:42:19 @[ attention_bwd.py:200:26 ]
	s_wait_alu depctr_sa_sdst(0)
	s_lshl_b64 s[8:9], s[54:55], 1
	s_wait_alu depctr_sa_sdst(0)
	s_add_nc_u64 s[8:9], s[84:85], s[8:9]
	.loc	1 42 50 is_stmt 0               ; attention_bwd.py:42:50 @[ attention_bwd.py:200:26 ]
	s_wait_alu depctr_sa_sdst(0)
	v_add_co_u32 v26, vcc_lo, s8, v162
	s_wait_alu depctr_va_vcc(0)
	v_add_co_ci_u32_e64 v27, null, s9, v163, vcc_lo
	.loc	1 58 21 is_stmt 1               ; attention_bwd.py:58:21 @[ attention_bwd.py:200:26 ]
	global_load_u16 v26, v[26:27], off
.LBB0_46:
	.loc	1 42 37                         ; attention_bwd.py:42:37 @[ attention_bwd.py:200:26 ]
	s_mul_i32 s8, s14, 14
	.loc	1 58 21                         ; attention_bwd.py:58:21 @[ attention_bwd.py:200:26 ]
	s_and_b32 vcc_lo, exec_lo, s2
	.loc	1 42 37                         ; attention_bwd.py:42:37 @[ attention_bwd.py:200:26 ]
	s_wait_alu depctr_sa_sdst(0)
	s_add_co_i32 s56, s88, s8
	.loc	1 42 19 is_stmt 0               ; attention_bwd.py:42:19 @[ attention_bwd.py:200:26 ]
	s_wait_alu depctr_sa_sdst(0)
	s_ashr_i32 s57, s56, 31
	.loc	1 58 21 is_stmt 1               ; attention_bwd.py:58:21 @[ attention_bwd.py:200:26 ]
	s_cbranch_vccnz .LBB0_48
; %bb.47:
	.loc	1 42 19                         ; attention_bwd.py:42:19 @[ attention_bwd.py:200:26 ]
	s_wait_alu depctr_sa_sdst(0)
	s_lshl_b64 s[8:9], s[56:57], 1
	s_wait_alu depctr_sa_sdst(0)
	s_add_nc_u64 s[8:9], s[84:85], s[8:9]
	.loc	1 42 50 is_stmt 0               ; attention_bwd.py:42:50 @[ attention_bwd.py:200:26 ]
	s_wait_alu depctr_sa_sdst(0)
	v_add_co_u32 v27, vcc_lo, s8, v162
	s_wait_alu depctr_va_vcc(0)
	v_add_co_ci_u32_e64 v28, null, s9, v163, vcc_lo
	.loc	1 58 21 is_stmt 1               ; attention_bwd.py:58:21 @[ attention_bwd.py:200:26 ]
	global_load_u16 v25, v[27:28], off
.LBB0_48:
	.loc	1 0 21 is_stmt 0                ; attention_bwd.py:0:21
	v_dual_mov_b32 v27, 0 :: v_dual_mov_b32 v28, 0
	.loc	1 42 37 is_stmt 1               ; attention_bwd.py:42:37 @[ attention_bwd.py:200:26 ]
	s_lshl4_add_u32 s58, s14, s88
	.loc	1 58 21                         ; attention_bwd.py:58:21 @[ attention_bwd.py:200:26 ]
	s_and_b32 vcc_lo, exec_lo, s2
	.loc	1 42 19                         ; attention_bwd.py:42:19 @[ attention_bwd.py:200:26 ]
	s_wait_alu depctr_sa_sdst(0)
	s_ashr_i32 s59, s58, 31
	.loc	1 58 21                         ; attention_bwd.py:58:21 @[ attention_bwd.py:200:26 ]
	s_cbranch_vccnz .LBB0_50
; %bb.49:
	.loc	1 42 19                         ; attention_bwd.py:42:19 @[ attention_bwd.py:200:26 ]
	s_wait_alu depctr_sa_sdst(0)
	s_lshl_b64 s[8:9], s[58:59], 1
	s_wait_alu depctr_sa_sdst(0)
	s_add_nc_u64 s[8:9], s[84:85], s[8:9]
	.loc	1 42 50 is_stmt 0               ; attention_bwd.py:42:50 @[ attention_bwd.py:200:26 ]
	s_wait_alu depctr_sa_sdst(0)
	v_add_co_u32 v28, vcc_lo, s8, v162
	s_wait_alu depctr_va_vcc(0)
	v_add_co_ci_u32_e64 v29, null, s9, v163, vcc_lo
	.loc	1 58 21 is_stmt 1               ; attention_bwd.py:58:21 @[ attention_bwd.py:200:26 ]
	global_load_u16 v28, v[28:29], off
.LBB0_50:
	.loc	1 42 37                         ; attention_bwd.py:42:37 @[ attention_bwd.py:200:26 ]
	s_mul_i32 s8, s14, 18
	.loc	1 58 21                         ; attention_bwd.py:58:21 @[ attention_bwd.py:200:26 ]
	s_and_b32 vcc_lo, exec_lo, s2
	.loc	1 42 37                         ; attention_bwd.py:42:37 @[ attention_bwd.py:200:26 ]
	s_wait_alu depctr_sa_sdst(0)
	s_add_co_i32 s60, s88, s8
	.loc	1 42 19 is_stmt 0               ; attention_bwd.py:42:19 @[ attention_bwd.py:200:26 ]
	s_wait_alu depctr_sa_sdst(0)
	s_ashr_i32 s61, s60, 31
	.loc	1 58 21 is_stmt 1               ; attention_bwd.py:58:21 @[ attention_bwd.py:200:26 ]
	s_cbranch_vccnz .LBB0_52
; %bb.51:
	.loc	1 42 19                         ; attention_bwd.py:42:19 @[ attention_bwd.py:200:26 ]
	s_wait_alu depctr_sa_sdst(0)
	s_lshl_b64 s[8:9], s[60:61], 1
	s_wait_alu depctr_sa_sdst(0)
	s_add_nc_u64 s[8:9], s[84:85], s[8:9]
	.loc	1 42 50 is_stmt 0               ; attention_bwd.py:42:50 @[ attention_bwd.py:200:26 ]
	s_wait_alu depctr_sa_sdst(0)
	v_add_co_u32 v29, vcc_lo, s8, v162
	s_wait_alu depctr_va_vcc(0)
	v_add_co_ci_u32_e64 v30, null, s9, v163, vcc_lo
	.loc	1 58 21 is_stmt 1               ; attention_bwd.py:58:21 @[ attention_bwd.py:200:26 ]
	global_load_u16 v27, v[29:30], off
.LBB0_52:
	.loc	1 42 37                         ; attention_bwd.py:42:37 @[ attention_bwd.py:200:26 ]
	s_mul_i32 s8, s14, 20
	v_dual_mov_b32 v29, 0 :: v_dual_mov_b32 v30, 0
	s_wait_alu depctr_sa_sdst(0)
	s_add_co_i32 s64, s88, s8
	.loc	1 58 21                         ; attention_bwd.py:58:21 @[ attention_bwd.py:200:26 ]
	s_and_b32 vcc_lo, exec_lo, s2
	.loc	1 42 19                         ; attention_bwd.py:42:19 @[ attention_bwd.py:200:26 ]
	s_wait_alu depctr_sa_sdst(0)
	s_ashr_i32 s65, s64, 31
	.loc	1 58 21                         ; attention_bwd.py:58:21 @[ attention_bwd.py:200:26 ]
	s_cbranch_vccnz .LBB0_54
; %bb.53:
	.loc	1 42 19                         ; attention_bwd.py:42:19 @[ attention_bwd.py:200:26 ]
	s_wait_alu depctr_sa_sdst(0)
	s_lshl_b64 s[8:9], s[64:65], 1
	s_wait_alu depctr_sa_sdst(0)
	s_add_nc_u64 s[8:9], s[84:85], s[8:9]
	.loc	1 42 50 is_stmt 0               ; attention_bwd.py:42:50 @[ attention_bwd.py:200:26 ]
	s_wait_alu depctr_sa_sdst(0)
	v_add_co_u32 v30, vcc_lo, s8, v162
	s_wait_alu depctr_va_vcc(0)
	v_add_co_ci_u32_e64 v31, null, s9, v163, vcc_lo
	.loc	1 58 21 is_stmt 1               ; attention_bwd.py:58:21 @[ attention_bwd.py:200:26 ]
	global_load_u16 v30, v[30:31], off
.LBB0_54:
	.loc	1 42 37                         ; attention_bwd.py:42:37 @[ attention_bwd.py:200:26 ]
	s_mul_i32 s8, s14, 22
	.loc	1 58 21                         ; attention_bwd.py:58:21 @[ attention_bwd.py:200:26 ]
	s_and_b32 vcc_lo, exec_lo, s2
	.loc	1 42 37                         ; attention_bwd.py:42:37 @[ attention_bwd.py:200:26 ]
	s_wait_alu depctr_sa_sdst(0)
	s_add_co_i32 s66, s88, s8
	.loc	1 42 19 is_stmt 0               ; attention_bwd.py:42:19 @[ attention_bwd.py:200:26 ]
	s_wait_alu depctr_sa_sdst(0)
	s_ashr_i32 s67, s66, 31
	.loc	1 58 21 is_stmt 1               ; attention_bwd.py:58:21 @[ attention_bwd.py:200:26 ]
	s_cbranch_vccnz .LBB0_56
; %bb.55:
	.loc	1 42 19                         ; attention_bwd.py:42:19 @[ attention_bwd.py:200:26 ]
	s_wait_alu depctr_sa_sdst(0)
	s_lshl_b64 s[8:9], s[66:67], 1
	s_wait_alu depctr_sa_sdst(0)
	s_add_nc_u64 s[8:9], s[84:85], s[8:9]
	.loc	1 42 50 is_stmt 0               ; attention_bwd.py:42:50 @[ attention_bwd.py:200:26 ]
	s_wait_alu depctr_sa_sdst(0)
	v_add_co_u32 v31, vcc_lo, s8, v162
	s_wait_alu depctr_va_vcc(0)
	v_add_co_ci_u32_e64 v32, null, s9, v163, vcc_lo
	.loc	1 58 21 is_stmt 1               ; attention_bwd.py:58:21 @[ attention_bwd.py:200:26 ]
	global_load_u16 v29, v[31:32], off
.LBB0_56:
	.loc	1 42 37                         ; attention_bwd.py:42:37 @[ attention_bwd.py:200:26 ]
	s_mul_i32 s8, s14, 24
	v_dual_mov_b32 v31, 0 :: v_dual_mov_b32 v32, 0
	s_wait_alu depctr_sa_sdst(0)
	s_add_co_i32 s68, s88, s8
	.loc	1 58 21                         ; attention_bwd.py:58:21 @[ attention_bwd.py:200:26 ]
	s_and_b32 vcc_lo, exec_lo, s2
	.loc	1 42 19                         ; attention_bwd.py:42:19 @[ attention_bwd.py:200:26 ]
	s_wait_alu depctr_sa_sdst(0)
	s_ashr_i32 s69, s68, 31
	.loc	1 58 21                         ; attention_bwd.py:58:21 @[ attention_bwd.py:200:26 ]
	s_cbranch_vccnz .LBB0_58
; %bb.57:
	.loc	1 42 19                         ; attention_bwd.py:42:19 @[ attention_bwd.py:200:26 ]
	s_wait_alu depctr_sa_sdst(0)
	s_lshl_b64 s[8:9], s[68:69], 1
	s_wait_alu depctr_sa_sdst(0)
	s_add_nc_u64 s[8:9], s[84:85], s[8:9]
	.loc	1 42 50 is_stmt 0               ; attention_bwd.py:42:50 @[ attention_bwd.py:200:26 ]
	s_wait_alu depctr_sa_sdst(0)
	v_add_co_u32 v32, vcc_lo, s8, v162
	s_wait_alu depctr_va_vcc(0)
	v_add_co_ci_u32_e64 v33, null, s9, v163, vcc_lo
	.loc	1 58 21 is_stmt 1               ; attention_bwd.py:58:21 @[ attention_bwd.py:200:26 ]
	global_load_u16 v32, v[32:33], off
.LBB0_58:
	.loc	1 42 37                         ; attention_bwd.py:42:37 @[ attention_bwd.py:200:26 ]
	s_mul_i32 s8, s14, 26
	.loc	1 58 21                         ; attention_bwd.py:58:21 @[ attention_bwd.py:200:26 ]
	s_and_b32 vcc_lo, exec_lo, s2
	.loc	1 42 37                         ; attention_bwd.py:42:37 @[ attention_bwd.py:200:26 ]
	s_wait_alu depctr_sa_sdst(0)
	s_add_co_i32 s70, s88, s8
	.loc	1 42 19 is_stmt 0               ; attention_bwd.py:42:19 @[ attention_bwd.py:200:26 ]
	s_wait_alu depctr_sa_sdst(0)
	s_ashr_i32 s71, s70, 31
	.loc	1 58 21 is_stmt 1               ; attention_bwd.py:58:21 @[ attention_bwd.py:200:26 ]
	s_cbranch_vccnz .LBB0_60
; %bb.59:
	.loc	1 42 19                         ; attention_bwd.py:42:19 @[ attention_bwd.py:200:26 ]
	s_wait_alu depctr_sa_sdst(0)
	s_lshl_b64 s[8:9], s[70:71], 1
	s_wait_alu depctr_sa_sdst(0)
	s_add_nc_u64 s[8:9], s[84:85], s[8:9]
	.loc	1 42 50 is_stmt 0               ; attention_bwd.py:42:50 @[ attention_bwd.py:200:26 ]
	s_wait_alu depctr_sa_sdst(0)
	v_add_co_u32 v33, vcc_lo, s8, v162
	s_wait_alu depctr_va_vcc(0)
	v_add_co_ci_u32_e64 v34, null, s9, v163, vcc_lo
	.loc	1 58 21 is_stmt 1               ; attention_bwd.py:58:21 @[ attention_bwd.py:200:26 ]
	global_load_u16 v31, v[33:34], off
.LBB0_60:
	.loc	1 0 21 is_stmt 0                ; attention_bwd.py:0:21
	v_writelane_b32 v253, s16, 13
	.loc	1 42 37 is_stmt 1               ; attention_bwd.py:42:37 @[ attention_bwd.py:200:26 ]
	s_mul_i32 s8, s14, 28
	v_dual_mov_b32 v33, 0 :: v_dual_mov_b32 v34, 0
	s_wait_alu depctr_sa_sdst(0)
	s_add_co_i32 s72, s88, s8
	v_writelane_b32 v253, s17, 14
	.loc	1 58 21                         ; attention_bwd.py:58:21 @[ attention_bwd.py:200:26 ]
	s_and_b32 vcc_lo, exec_lo, s2
	.loc	1 42 19                         ; attention_bwd.py:42:19 @[ attention_bwd.py:200:26 ]
	s_wait_alu depctr_sa_sdst(0)
	s_ashr_i32 s73, s72, 31
	v_writelane_b32 v253, s10, 15
	v_writelane_b32 v253, s11, 16
	.loc	1 58 21                         ; attention_bwd.py:58:21 @[ attention_bwd.py:200:26 ]
	s_cbranch_vccnz .LBB0_62
; %bb.61:
	.loc	1 42 19                         ; attention_bwd.py:42:19 @[ attention_bwd.py:200:26 ]
	s_wait_alu depctr_sa_sdst(0)
	s_lshl_b64 s[8:9], s[72:73], 1
	s_wait_alu depctr_sa_sdst(0)
	s_add_nc_u64 s[8:9], s[84:85], s[8:9]
	.loc	1 42 50 is_stmt 0               ; attention_bwd.py:42:50 @[ attention_bwd.py:200:26 ]
	s_wait_alu depctr_sa_sdst(0)
	v_add_co_u32 v34, vcc_lo, s8, v162
	s_wait_alu depctr_va_vcc(0)
	v_add_co_ci_u32_e64 v35, null, s9, v163, vcc_lo
	.loc	1 58 21 is_stmt 1               ; attention_bwd.py:58:21 @[ attention_bwd.py:200:26 ]
	global_load_u16 v34, v[34:35], off
.LBB0_62:
	.loc	1 0 21 is_stmt 0                ; attention_bwd.py:0:21
	s_load_b128 s[8:11], s[0:1], 0x40
	v_writelane_b32 v253, s18, 17
	.loc	1 42 37 is_stmt 1               ; attention_bwd.py:42:37 @[ attention_bwd.py:200:26 ]
	s_mul_i32 s16, s14, 30
	.loc	1 58 21                         ; attention_bwd.py:58:21 @[ attention_bwd.py:200:26 ]
	s_and_b32 vcc_lo, exec_lo, s2
	.loc	1 42 37                         ; attention_bwd.py:42:37 @[ attention_bwd.py:200:26 ]
	s_wait_alu depctr_sa_sdst(0)
	s_add_co_i32 s74, s88, s16
	v_writelane_b32 v253, s19, 18
	.loc	1 42 19 is_stmt 0               ; attention_bwd.py:42:19 @[ attention_bwd.py:200:26 ]
	s_wait_alu depctr_sa_sdst(0)
	s_ashr_i32 s75, s74, 31
	.loc	1 58 21 is_stmt 1               ; attention_bwd.py:58:21 @[ attention_bwd.py:200:26 ]
	s_cbranch_vccnz .LBB0_64
; %bb.63:
	.loc	1 42 19                         ; attention_bwd.py:42:19 @[ attention_bwd.py:200:26 ]
	s_wait_alu depctr_sa_sdst(0)
	s_lshl_b64 s[16:17], s[74:75], 1
	s_wait_alu depctr_sa_sdst(0)
	s_add_nc_u64 s[16:17], s[84:85], s[16:17]
	.loc	1 42 50 is_stmt 0               ; attention_bwd.py:42:50 @[ attention_bwd.py:200:26 ]
	s_wait_alu depctr_sa_sdst(0)
	v_add_co_u32 v35, vcc_lo, s16, v162
	s_wait_alu depctr_va_vcc(0)
	v_add_co_ci_u32_e64 v36, null, s17, v163, vcc_lo
	.loc	1 58 21 is_stmt 1               ; attention_bwd.py:58:21 @[ attention_bwd.py:200:26 ]
	global_load_u16 v33, v[35:36], off
.LBB0_64:
	.loc	1 38 36                         ; attention_bwd.py:38:36 @[ attention_bwd.py:200:26 ]
	v_lshlrev_b32_e32 v35, 1, v104
.Ltmp15:
	.loc	1 143 22                        ; attention_bwd.py:143:22
	s_mul_i32 s16, vcc_hi, s81
	s_mov_b32 s19, 0x31027000
	.loc	1 143 32 is_stmt 0              ; attention_bwd.py:143:32
	s_wait_alu depctr_sa_sdst(0)
	s_ashr_i32 s17, s16, 31
	s_mov_b32 s18, 0x7ffffffe
.Ltmp16:
	.loc	1 38 36 is_stmt 1               ; attention_bwd.py:38:36 @[ attention_bwd.py:200:26 ]
	v_and_b32_e32 v36, 60, v35
.Ltmp17:
	.loc	1 155 9                         ; attention_bwd.py:155:9
	s_wait_alu depctr_sa_sdst(0)
	s_lshl_b64 s[86:87], s[16:17], 2
.Ltmp18:
	.loc	1 51 20                         ; attention_bwd.py:51:20 @[ attention_bwd.py:200:26 ]
	v_cndmask_b32_e64 v35, 0x80000000, v35, s3
.Ltmp19:
	.loc	1 155 9                         ; attention_bwd.py:155:9
	s_wait_kmcnt 0x0
	s_add_nc_u64 s[24:25], s[8:9], s[86:87]
	.loc	1 156 9                         ; attention_bwd.py:156:9
	s_add_nc_u64 s[22:23], s[10:11], s[86:87]
.Ltmp20:
	.loc	1 51 20                         ; attention_bwd.py:51:20 @[ attention_bwd.py:200:26 ]
	s_wait_alu depctr_sa_sdst(0)
	s_and_b32 s17, s25, 0xffff
	v_writelane_b32 v253, s24, 19
	v_or_b32_e32 v44, 64, v36
	v_or_b32_e32 v37, 4, v36
	;; [unrolled: 1-line block ×9, first 2 shown]
	v_writelane_b32 v253, s25, 20
	v_or_b32_e32 v41, 20, v36
	v_or_b32_e32 v42, 24, v36
	;; [unrolled: 1-line block ×3, first 2 shown]
	v_cndmask_b32_e64 v44, 0x80000000, v44, s3
	v_or_b32_e32 v49, 0x54, v36
	v_or_b32_e32 v50, 0x58, v36
	;; [unrolled: 1-line block ×3, first 2 shown]
	v_cndmask_b32_e64 v37, 0x80000000, v37, s3
	v_cndmask_b32_e64 v45, 0x80000000, v45, s3
	;; [unrolled: 1-line block ×4, first 2 shown]
	s_mov_b32 s16, s24
	v_cndmask_b32_e64 v39, 0x80000000, v39, s3
	v_cndmask_b32_e64 v47, 0x80000000, v47, s3
	;; [unrolled: 1-line block ×7, first 2 shown]
	s_clause 0x7
	buffer_load_b32 v212, v35, s[16:19], null offen
	buffer_load_b32 v213, v37, s[16:19], null offen
	;; [unrolled: 1-line block ×8, first 2 shown]
	v_cndmask_b32_e64 v49, 0x80000000, v49, s3
	v_cndmask_b32_e64 v50, 0x80000000, v50, s3
	;; [unrolled: 1-line block ×3, first 2 shown]
	s_clause 0x7
	buffer_load_b32 v98, v44, s[16:19], null offen
	buffer_load_b32 v99, v45, s[16:19], null offen
	buffer_load_b32 v100, v46, s[16:19], null offen
	buffer_load_b32 v101, v47, s[16:19], null offen
	buffer_load_b32 v232, v48, s[16:19], null offen
	buffer_load_b32 v233, v49, s[16:19], null offen
	buffer_load_b32 v234, v50, s[16:19], null offen
	buffer_load_b32 v235, v36, s[16:19], null offen
	.loc	1 64 21                         ; attention_bwd.py:64:21 @[ attention_bwd.py:200:26 ]
	s_and_b32 s17, s23, 0xffff
	v_writelane_b32 v253, s22, 21
	s_mov_b32 s16, s22
	s_clause 0xf
	buffer_load_b32 v156, v35, s[16:19], null offen
	buffer_load_b32 v157, v37, s[16:19], null offen
	;; [unrolled: 1-line block ×16, first 2 shown]
	ds_load_b128 v[60:63], v128
	ds_load_b128 v[56:59], v111
	ds_load_b128 v[52:55], v112
	ds_load_b128 v[48:51], v113
	ds_load_b128 v[44:47], v106
	ds_load_b128 v[40:43], v107
	ds_load_b128 v[36:39], v108
	ds_load_b128 v[121:124], v110
	.loc	1 48 21                         ; attention_bwd.py:48:21 @[ attention_bwd.py:200:26 ]
	v_lshlrev_b32_e32 v35, 1, v103
.Ltmp21:
	.loc	1 191 37                        ; attention_bwd.py:191:37
	s_ashr_i32 s3, vcc_hi, 31
	v_writelane_b32 v253, s23, 22
	s_wait_alu depctr_sa_sdst(0)
	s_lshr_b32 s3, s3, 27
	s_mov_b32 s18, -1
.Ltmp22:
	.loc	1 48 21                         ; attention_bwd.py:48:21 @[ attention_bwd.py:200:26 ]
	v_and_b32_e32 v35, 0x1fe, v35
.Ltmp23:
	.loc	1 191 37                        ; attention_bwd.py:191:37
	s_wait_alu depctr_sa_sdst(0)
	s_add_co_i32 s3, vcc_hi, s3
                                        ; implicit-def: $vgpr65
                                        ; implicit-def: $vgpr109
                                        ; implicit-def: $vgpr64
                                        ; implicit-def: $vgpr66
                                        ; implicit-def: $vgpr67
	s_wait_alu depctr_sa_sdst(0)
	s_ashr_i32 s17, s3, 5
.Ltmp24:
	.loc	1 47 25                         ; attention_bwd.py:47:25 @[ attention_bwd.py:200:26 ]
	s_cmp_gt_i32 vcc_hi, 63
	.loc	1 48 21                         ; attention_bwd.py:48:21 @[ attention_bwd.py:200:26 ]
	v_add_nc_u32_e32 v184, 0, v35
	.loc	1 47 25                         ; attention_bwd.py:47:25 @[ attention_bwd.py:200:26 ]
	s_cselect_b32 vcc_hi, -1, 0
	s_wait_alu depctr_sa_sdst(0)
	s_and_b32 vcc_lo, exec_lo, vcc_hi
	.loc	1 48 21                         ; attention_bwd.py:48:21 @[ attention_bwd.py:200:26 ]
	s_wait_loadcnt_dscnt 0x0
	s_barrier_signal -1
	scratch_store_b32 off, v103, off offset:900 ; 4-byte Folded Spill
	s_barrier_wait -1
	s_wait_storecnt 0x0
	global_inv scope:SCOPE_SE
	ds_store_b16 v184, v4
	ds_store_b16 v184, v3 offset:512
	ds_store_b16 v184, v6 offset:1024
	;; [unrolled: 1-line block ×15, first 2 shown]
	.loc	1 58 21                         ; attention_bwd.py:58:21 @[ attention_bwd.py:200:26 ]
	ds_store_b16 v184, v20 offset:8192
	ds_store_b16 v184, v19 offset:8704
	;; [unrolled: 1-line block ×16, first 2 shown]
	v_lshlrev_b32_e32 v6, 6, v143
	v_lshlrev_b32_e32 v5, 1, v143
	;; [unrolled: 1-line block ×3, first 2 shown]
	.loc	1 47 25                         ; attention_bwd.py:47:25 @[ attention_bwd.py:200:26 ]
	s_wait_alu depctr_sa_sdst(0)
	s_cbranch_vccnz .LBB0_66
; %bb.65:                               ; %.._crit_edge_crit_edge
	.loc	1 69 26                         ; attention_bwd.py:69:26 @[ attention_bwd.py:200:26 ]
	s_and_b32 s3, s33, 1
	s_wait_alu depctr_sa_sdst(0)
	v_dual_mov_b32 v109, s3 :: v_dual_lshlrev_b32 v66, 1, v143
	s_lshl_b32 s16, s3, 10
	s_wait_alu depctr_sa_sdst(0)
	v_dual_mov_b32 v64, s16 :: v_dual_lshlrev_b32 v65, 6, v143
	.loc	1 48 21                         ; attention_bwd.py:48:21 @[ attention_bwd.py:200:26 ]
	v_lshlrev_b32_e32 v67, 5, v104
	s_mov_b32 s18, 0
.LBB0_66:                               ; %Flow1417
	.loc	1 0 21 is_stmt 0                ; attention_bwd.py:0:21
	v_writelane_b32 v253, s4, 23
	v_mov_b32_e32 v199, 0
	s_and_b32 s3, s80, 0xc0
	s_lshl_b32 s24, s14, 5
	s_wait_alu depctr_sa_sdst(0)
	s_and_not1_b32 vcc_lo, exec_lo, s18
	v_writelane_b32 v253, s5, 24
	s_add_co_i32 s22, s17, -1
	s_clause 0xb                            ; 132-byte Folded Spill
	scratch_store_b128 off, v[60:63], off offset:824
	scratch_store_b128 off, v[56:59], off offset:808
	;; [unrolled: 1-line block ×7, first 2 shown]
	scratch_store_b32 off, v108, off offset:868
	scratch_store_b32 off, v110, off offset:872
	;; [unrolled: 1-line block ×5, first 2 shown]
	v_writelane_b32 v253, s6, 25
	v_writelane_b32 v253, s7, 26
	s_wait_alu depctr_sa_sdst(0)
	s_cbranch_vccnz .LBB0_70
; %bb.67:                               ; %.lr.ph
	s_ashr_i32 s25, s24, 31
	.loc	1 47 25 is_stmt 1               ; attention_bwd.py:47:25 @[ attention_bwd.py:200:26 ]
	v_lshlrev_b64_e32 v[1:2], 1, v[1:2]
	s_wait_alu depctr_sa_sdst(0)
	s_lshl_b64 s[18:19], s[24:25], 1
	s_lshl_b64 s[80:81], s[74:75], 1
	s_wait_alu depctr_sa_sdst(0)
	s_add_nc_u64 s[74:75], s[98:99], s[18:19]
	s_lshl_b64 s[72:73], s[72:73], 1
	s_wait_alu depctr_sa_sdst(0)
	s_add_nc_u64 s[80:81], s[74:75], s[80:81]
	s_add_nc_u64 s[72:73], s[74:75], s[72:73]
	s_wait_alu depctr_sa_sdst(0)
	v_add_co_u32 v24, vcc_lo, s80, v1
	s_lshl_b64 s[70:71], s[70:71], 1
	s_wait_alu depctr_va_vcc(0)
	v_add_co_ci_u32_e64 v28, null, s81, v2, vcc_lo
	v_add_co_u32 v29, vcc_lo, s72, v1
	s_wait_alu depctr_sa_sdst(0)
	s_add_nc_u64 s[70:71], s[74:75], s[70:71]
	s_lshl_b64 s[68:69], s[68:69], 1
	s_wait_alu depctr_va_vcc(0)
	v_add_co_ci_u32_e64 v30, null, s73, v2, vcc_lo
	s_wait_alu depctr_sa_sdst(0)
	v_add_co_u32 v31, vcc_lo, s70, v1
	s_add_nc_u64 s[68:69], s[74:75], s[68:69]
	s_lshl_b64 s[66:67], s[66:67], 1
	s_wait_alu depctr_va_vcc(0)
	v_add_co_ci_u32_e64 v25, null, s71, v2, vcc_lo
	s_wait_alu depctr_sa_sdst(0)
	v_add_co_u32 v26, vcc_lo, s68, v1
	;; [unrolled: 6-line block ×7, first 2 shown]
	s_add_nc_u64 s[54:55], s[74:75], s[54:55]
	s_wait_alu depctr_va_vcc(0)
	v_add_co_ci_u32_e64 v77, null, s57, v2, vcc_lo
	s_lshl_b64 s[56:57], s[102:103], 1
	s_wait_alu depctr_sa_sdst(0)
	v_add_co_u32 v78, vcc_lo, s54, v1
	s_wait_alu depctr_va_vcc(0)
	v_add_co_ci_u32_e64 v240, null, s55, v2, vcc_lo
	s_add_nc_u64 s[54:55], s[74:75], s[56:57]
	s_lshl_b64 s[56:57], s[100:101], 1
	s_wait_alu depctr_sa_sdst(0)
	v_add_co_u32 v241, vcc_lo, s54, v1
	s_wait_alu depctr_va_vcc(0)
	v_add_co_ci_u32_e64 v242, null, s55, v2, vcc_lo
	s_add_nc_u64 s[54:55], s[74:75], s[56:57]
	;; [unrolled: 6-line block ×3, first 2 shown]
	v_dual_mov_b32 v40, 0 :: v_dual_add_nc_u32 v3, 0, v4
	s_lshl_b64 s[56:57], s[94:95], 1
	s_wait_alu depctr_sa_sdst(0)
	v_add_co_u32 v245, vcc_lo, s54, v1
	v_readlane_b32 s42, v253, 9
	s_wait_alu depctr_va_vcc(0)
	v_add_co_ci_u32_e64 v246, null, s55, v2, vcc_lo
	s_add_nc_u64 s[54:55], s[74:75], s[56:57]
	s_lshl_b64 s[56:57], s[92:93], 1
	v_readlane_b32 s43, v253, 10
	v_dual_mov_b32 v41, v40 :: v_dual_lshlrev_b32 v0, 1, v0
	s_clause 0x3                            ; 20-byte Folded Spill
	scratch_store_b32 off, v4, off offset:968
	scratch_store_b32 off, v6, off offset:964
	;; [unrolled: 1-line block ×3, first 2 shown]
	scratch_store_b64 off, v[205:206], off offset:920
	v_dual_mov_b32 v43, v40 :: v_dual_add_nc_u32 v4, v3, v4
	s_lshl_b64 s[58:59], s[88:89], 1
	s_wait_alu depctr_sa_sdst(0)
	s_add_nc_u64 s[56:57], s[74:75], s[56:57]
	v_add_co_u32 v247, vcc_lo, s54, v1
	s_add_nc_u64 s[58:59], s[74:75], s[58:59]
	s_wait_alu depctr_va_vcc(0)
	v_add_co_ci_u32_e64 v185, null, s55, v2, vcc_lo
	s_wait_alu depctr_sa_sdst(0)
	v_add_co_u32 v226, vcc_lo, s56, v1
	v_readlane_b32 s26, v253, 7
	s_lshl_b64 s[64:65], s[42:43], 1
	v_readlane_b32 s42, v253, 11
	s_wait_alu depctr_va_vcc(0)
	v_add_co_ci_u32_e64 v227, null, s57, v2, vcc_lo
	v_add_co_u32 v204, vcc_lo, s58, v1
	v_lshl_add_u32 v1, v104, 6, v4
	v_dual_mov_b32 v45, v40 :: v_dual_and_b32 v64, 32, v0
	v_add_nc_u32_e32 v0, v4, v5
	v_readlane_b32 s27, v253, 8
	v_readlane_b32 s43, v253, 12
	s_and_b32 s17, s33, 1
	v_dual_mov_b32 v20, v68 :: v_dual_mov_b32 v219, v101
	s_wait_alu depctr_sa_sdst(0)
	s_lshl_b32 s100, s17, 10
	s_lshl_b32 s16, s17, 5
	v_dual_mov_b32 v42, v40 :: v_dual_add_nc_u32 v207, v3, v5
	s_wait_alu depctr_sa_sdst(0)
	v_add3_u32 v209, v1, s16, v5
	s_lshl_b64 s[54:55], s[26:27], 1
	s_add_nc_u64 s[96:97], s[4:5], s[18:19]
	s_lshl_b64 s[66:67], s[42:43], 1
	v_readlane_b32 s42, v253, 17
	v_dual_mov_b32 v44, v40 :: v_dual_mov_b32 v3, v40
	v_mov_b32_e32 v46, v40
	v_dual_mov_b32 v4, v40 :: v_dual_mov_b32 v7, v40
	v_dual_mov_b32 v8, v40 :: v_dual_mov_b32 v13, v40
	;; [unrolled: 1-line block ×3, first 2 shown]
	v_mov_b32_e32 v15, v40
	v_mov_b32_e32 v21, v69
	s_clause 0x1                            ; 8-byte Folded Spill
	scratch_store_b32 off, v0, off offset:856
	scratch_store_b32 off, v5, off offset:960
	v_add3_u32 v0, 0, s100, v6
	v_dual_mov_b32 v5, v40 :: v_dual_mov_b32 v6, v40
	v_readlane_b32 s43, v253, 18
	s_lshl_b64 s[56:57], s[50:51], 1
	s_wait_alu depctr_sa_sdst(0)
	s_add_nc_u64 s[4:5], s[96:97], s[54:55]
	s_wait_alu depctr_va_vcc(0)
	v_add_co_ci_u32_e64 v2, null, s59, v2, vcc_lo
	s_add_nc_u64 s[54:55], s[96:97], s[56:57]
	s_lshl_b64 s[56:57], s[48:49], 1
	s_wait_alu depctr_sa_sdst(0)
	v_add_co_u32 v65, vcc_lo, s4, v205
	s_clause 0x5                            ; 96-byte Folded Spill
	scratch_store_b128 off, v[3:6], off
	scratch_store_b128 off, v[7:10], off offset:16
	scratch_store_b128 off, v[3:6], off offset:32
	;; [unrolled: 1-line block ×5, first 2 shown]
	s_lshl_b64 s[58:59], s[46:47], 1
	s_add_nc_u64 s[56:57], s[96:97], s[56:57]
	s_lshl_b64 s[68:69], s[42:43], 1
	v_readlane_b32 s42, v253, 13
	v_dual_mov_b32 v23, v71 :: v_dual_add_nc_u32 v0, v0, v104
	s_wait_alu depctr_va_vcc(0)
	v_add_co_ci_u32_e64 v81, null, s5, v206, vcc_lo
	v_add_co_u32 v3, vcc_lo, s54, v205
	v_readlane_b32 s43, v253, 14
	s_wait_alu depctr_sa_sdst(0)
	s_add_nc_u64 s[58:59], s[96:97], s[58:59]
	s_lshl_b64 s[60:61], s[44:45], 1
	s_wait_alu depctr_va_vcc(0)
	v_add_co_ci_u32_e64 v83, null, s55, v206, vcc_lo
	v_add_co_u32 v84, vcc_lo, s56, v205
	s_wait_alu depctr_sa_sdst(0)
	s_add_nc_u64 s[60:61], s[96:97], s[60:61]
	s_wait_alu depctr_va_vcc(0)
	v_add_co_ci_u32_e64 v85, null, s57, v206, vcc_lo
	v_add_co_u32 v86, vcc_lo, s58, v205
	s_clause 0x1                            ; 8-byte Folded Spill
	scratch_store_b32 off, v0, off offset:860
	scratch_store_b32 off, v104, off offset:952
	v_dual_mov_b32 v47, v40 :: v_dual_add_nc_u32 v0, 0, v104
	v_add_co_u32 v104, s10, s10, v64
	s_add_nc_u64 s[64:65], s[96:97], s[64:65]
	s_lshl_b64 s[70:71], s[42:43], 1
	v_readlane_b32 s42, v253, 15
	s_wait_alu depctr_va_vcc(0)
	v_add_co_ci_u32_e64 v87, null, s59, v206, vcc_lo
	s_wait_alu depctr_sa_sdst(0)
	v_add_co_u32 v88, vcc_lo, s60, v205
	v_readlane_b32 s43, v253, 16
	v_add_co_ci_u32_e64 v1, null, s11, 0, s10
	s_add_nc_u64 s[66:67], s[96:97], s[66:67]
	s_wait_alu depctr_va_vcc(0)
	v_add_co_ci_u32_e64 v89, null, s61, v206, vcc_lo
	v_add_co_u32 v82, vcc_lo, s64, v205
	s_add_nc_u64 s[68:69], s[96:97], s[68:69]
	s_wait_alu depctr_va_vcc(0)
	v_add_co_ci_u32_e64 v90, null, s65, v206, vcc_lo
	s_wait_alu depctr_sa_sdst(0)
	v_add_co_u32 v91, vcc_lo, s66, v205
	s_lshl_b64 s[72:73], s[42:43], 1
	s_add_nc_u64 s[70:71], s[96:97], s[70:71]
	s_clause 0x1                            ; 20-byte Folded Spill
	scratch_store_b32 off, v1, off offset:96
	scratch_store_b128 off, v[121:124], off offset:840
	s_wait_alu depctr_va_vcc(0)
	v_add_co_ci_u32_e64 v1, null, s67, v206, vcc_lo
	v_add_co_u32 v93, vcc_lo, s68, v205
	s_wait_alu depctr_sa_sdst(0)
	s_add_nc_u64 s[72:73], s[96:97], s[72:73]
	s_lshl_b64 s[74:75], s[40:41], 1
	s_wait_alu depctr_va_vcc(0)
	v_add_co_ci_u32_e64 v94, null, s69, v206, vcc_lo
	v_add_co_u32 v95, vcc_lo, s70, v205
	s_lshl_b64 s[80:81], s[38:39], 1
	s_wait_alu depctr_sa_sdst(0)
	s_add_nc_u64 s[74:75], s[96:97], s[74:75]
	s_wait_alu depctr_va_vcc(0)
	v_add_co_ci_u32_e64 v96, null, s71, v206, vcc_lo
	v_add_co_u32 v225, vcc_lo, s72, v205
	s_add_nc_u64 s[88:89], s[96:97], s[80:81]
	s_lshl_b64 s[80:81], s[36:37], 1
	s_wait_alu depctr_va_vcc(0)
	v_add_co_ci_u32_e64 v92, null, s73, v206, vcc_lo
	s_wait_alu depctr_sa_sdst(0)
	v_add_co_u32 v102, vcc_lo, s74, v205
	s_lshl_b64 s[94:95], s[30:31], 1
	s_add_nc_u64 s[92:93], s[96:97], s[80:81]
	v_dual_mov_b32 v22, v70 :: v_dual_add_nc_u32 v211, v0, v105
	s_wait_alu depctr_va_vcc(0)
	v_add_co_ci_u32_e64 v103, null, s75, v206, vcc_lo
	v_add_co_u32 v105, vcc_lo, s88, v205
	s_clause 0x8                            ; 40-byte Folded Spill
	scratch_store_b32 off, v183, off offset:948
	scratch_store_b32 off, v182, off offset:944
	;; [unrolled: 1-line block ×4, first 2 shown]
	scratch_store_b64 off, v[162:163], off offset:928
	scratch_store_b32 off, v143, off offset:916
	scratch_store_b32 off, v107, off offset:912
	scratch_store_b32 off, v106, off offset:908
	scratch_store_b32 off, v128, off offset:904
	s_wait_alu depctr_sa_sdst(0)
	s_add_nc_u64 s[94:95], s[96:97], s[94:95]
	s_lshl_b64 s[80:81], s[28:29], 1
	s_wait_alu depctr_va_vcc(0)
	v_add_co_ci_u32_e64 v210, null, s89, v206, vcc_lo
	v_add_co_u32 v107, vcc_lo, s92, v205
	s_lshl_b64 s[102:103], s[20:21], 1
	s_wait_alu depctr_sa_sdst(0)
	s_add_nc_u64 s[98:99], s[96:97], s[80:81]
	s_wait_alu depctr_va_vcc(0)
	v_add_co_ci_u32_e64 v108, null, s93, v206, vcc_lo
	v_add_co_u32 v56, vcc_lo, s94, v205
	s_add_nc_u64 s[96:97], s[96:97], s[102:103]
	s_wait_alu depctr_va_vcc(0)
	v_add_co_ci_u32_e64 v57, null, s95, v206, vcc_lo
	s_wait_alu depctr_sa_sdst(0)
	v_add_co_u32 v58, vcc_lo, s98, v205
	v_add_co_u32 v0, s8, s8, v64
	s_wait_alu depctr_va_vcc(0)
	v_add_co_ci_u32_e64 v59, null, s99, v206, vcc_lo
	v_add_co_u32 v60, vcc_lo, s96, v205
	v_dual_mov_b32 v218, v100 :: v_dual_mov_b32 v223, v117
	v_dual_mov_b32 v12, v40 :: v_dual_mov_b32 v17, v40
	;; [unrolled: 1-line block ×13, first 2 shown]
	s_wait_alu depctr_va_sdst(0)
	v_add_co_ci_u32_e64 v67, null, s9, 0, s8
	s_wait_alu depctr_va_vcc(0)
	v_add_co_ci_u32_e64 v61, null, s97, v206, vcc_lo
	v_dual_mov_b32 v70, v81 :: v_dual_mov_b32 v217, v99
	v_dual_mov_b32 v216, v98 :: v_dual_mov_b32 v221, v115
	v_mov_b32_e32 v222, v116
	v_mov_b32_e32 v220, v114
	s_lshr_b32 s101, s3, 1
	s_max_i32 s102, s22, 1
.LBB0_68:                               ; =>This Inner Loop Header: Depth=1
	.loc	1 72 19                         ; attention_bwd.py:72:19 @[ attention_bwd.py:200:26 ]
	v_add_co_u32 v64, vcc_lo, v60, s12
	s_wait_alu depctr_va_vcc(0)
	v_add_co_ci_u32_e64 v65, null, s13, v61, vcc_lo
	s_clause 0x10                           ; 68-byte Folded Spill
	scratch_store_b32 off, v92, off offset:240
	scratch_store_b32 off, v1, off offset:224
	;; [unrolled: 1-line block ×17, first 2 shown]
	v_mov_b32_e32 v187, v78
	v_mov_b32_e32 v205, v79
	.loc	1 48 21                         ; attention_bwd.py:48:21 @[ attention_bwd.py:200:26 ]
	global_load_u16 v62, v[64:65], off
	.loc	1 72 19                         ; attention_bwd.py:72:19 @[ attention_bwd.py:200:26 ]
	v_add_co_u32 v64, vcc_lo, v58, s12
	s_wait_alu depctr_va_vcc(0)
	v_add_co_ci_u32_e64 v65, null, s13, v59, vcc_lo
	.loc	1 47 25                         ; attention_bwd.py:47:25 @[ attention_bwd.py:200:26 ]
	s_add_co_i32 s102, s102, -1
	.loc	1 73 19                         ; attention_bwd.py:73:19 @[ attention_bwd.py:200:26 ]
	scratch_store_b32 off, v70, off offset:256 ; 4-byte Folded Spill
	.loc	1 47 25                         ; attention_bwd.py:47:25 @[ attention_bwd.py:200:26 ]
	s_cmp_lg_u32 s102, 0
	v_mov_b32_e32 v106, v234
	v_mov_b32_e32 v186, v66
	;; [unrolled: 1-line block ×3, first 2 shown]
	.loc	1 72 19                         ; attention_bwd.py:72:19 @[ attention_bwd.py:200:26 ]
	s_wait_loadcnt 0x0
	scratch_store_b32 off, v62, off offset:288 ; 4-byte Folded Spill
	.loc	1 48 21                         ; attention_bwd.py:48:21 @[ attention_bwd.py:200:26 ]
	global_load_u16 v62, v[64:65], off
	.loc	1 72 19                         ; attention_bwd.py:72:19 @[ attention_bwd.py:200:26 ]
	v_add_co_u32 v64, vcc_lo, v56, s12
	s_wait_alu depctr_va_vcc(0)
	v_add_co_ci_u32_e64 v65, null, s13, v57, vcc_lo
	s_wait_loadcnt 0x0
	scratch_store_b32 off, v62, off offset:304 ; 4-byte Folded Spill
	.loc	1 48 21                         ; attention_bwd.py:48:21 @[ attention_bwd.py:200:26 ]
	global_load_u16 v62, v[64:65], off
	.loc	1 72 19                         ; attention_bwd.py:72:19 @[ attention_bwd.py:200:26 ]
	v_add_co_u32 v64, vcc_lo, v107, s12
	s_wait_alu depctr_va_vcc(0)
	v_add_co_ci_u32_e64 v65, null, s13, v108, vcc_lo
	;; [unrolled: 8-line block ×5, first 2 shown]
	v_mov_b32_e32 v92, v159
	s_wait_loadcnt 0x0
	scratch_store_b32 off, v62, off offset:368 ; 4-byte Folded Spill
	.loc	1 48 21                         ; attention_bwd.py:48:21 @[ attention_bwd.py:200:26 ]
	global_load_u16 v62, v[64:65], off
	.loc	1 72 19                         ; attention_bwd.py:72:19 @[ attention_bwd.py:200:26 ]
	v_add_co_u32 v64, vcc_lo, v95, s12
	s_wait_alu depctr_va_vcc(0)
	v_add_co_ci_u32_e64 v65, null, s13, v96, vcc_lo
	v_dual_mov_b32 v95, v133 :: v_dual_mov_b32 v96, v134
	s_wait_loadcnt 0x0
	scratch_store_b32 off, v62, off offset:384 ; 4-byte Folded Spill
	.loc	1 48 21                         ; attention_bwd.py:48:21 @[ attention_bwd.py:200:26 ]
	global_load_u16 v62, v[64:65], off
	.loc	1 72 19                         ; attention_bwd.py:72:19 @[ attention_bwd.py:200:26 ]
	v_add_co_u32 v64, vcc_lo, v93, s12
	s_wait_alu depctr_va_vcc(0)
	v_add_co_ci_u32_e64 v65, null, s13, v94, vcc_lo
	v_dual_mov_b32 v93, v131 :: v_dual_mov_b32 v94, v132
	s_wait_loadcnt 0x0
	scratch_store_b32 off, v62, off offset:400 ; 4-byte Folded Spill
	.loc	1 48 21                         ; attention_bwd.py:48:21 @[ attention_bwd.py:200:26 ]
	global_load_u16 v62, v[64:65], off
	.loc	1 72 19                         ; attention_bwd.py:72:19 @[ attention_bwd.py:200:26 ]
	v_add_co_u32 v64, vcc_lo, v91, s12
	s_wait_alu depctr_va_vcc(0)
	v_add_co_ci_u32_e64 v65, null, s13, v1, vcc_lo
	v_add_co_u32 v81, vcc_lo, v82, s12
	s_wait_alu depctr_va_vcc(0)
	v_add_co_ci_u32_e64 v82, null, s13, v90, vcc_lo
	.loc	1 48 21                         ; attention_bwd.py:48:21 @[ attention_bwd.py:200:26 ]
	global_load_u16 v1, v[64:65], off
	v_dual_mov_b32 v90, v157 :: v_dual_mov_b32 v91, v158
	.loc	1 72 19                         ; attention_bwd.py:72:19 @[ attention_bwd.py:200:26 ]
	s_wait_loadcnt 0x1
	scratch_store_b32 off, v62, off offset:416 ; 4-byte Folded Spill
	s_wait_loadcnt 0x0
	scratch_store_b32 off, v1, off offset:432 ; 4-byte Folded Spill
	.loc	1 48 21                         ; attention_bwd.py:48:21 @[ attention_bwd.py:200:26 ]
	global_load_u16 v1, v[81:82], off
	.loc	1 72 19                         ; attention_bwd.py:72:19 @[ attention_bwd.py:200:26 ]
	v_add_co_u32 v81, vcc_lo, v88, s12
	s_wait_alu depctr_va_vcc(0)
	v_add_co_ci_u32_e64 v82, null, s13, v89, vcc_lo
	v_mov_b32_e32 v89, v156
	s_wait_loadcnt 0x0
	scratch_store_b32 off, v1, off offset:448 ; 4-byte Folded Spill
	.loc	1 48 21                         ; attention_bwd.py:48:21 @[ attention_bwd.py:200:26 ]
	global_load_u16 v1, v[81:82], off
	.loc	1 72 19                         ; attention_bwd.py:72:19 @[ attention_bwd.py:200:26 ]
	v_add_co_u32 v81, vcc_lo, v86, s12
	s_wait_alu depctr_va_vcc(0)
	v_add_co_ci_u32_e64 v82, null, s13, v87, vcc_lo
	s_wait_loadcnt 0x0
	scratch_store_b32 off, v1, off offset:464 ; 4-byte Folded Spill
	.loc	1 48 21                         ; attention_bwd.py:48:21 @[ attention_bwd.py:200:26 ]
	global_load_u16 v1, v[81:82], off
	.loc	1 72 19                         ; attention_bwd.py:72:19 @[ attention_bwd.py:200:26 ]
	v_add_co_u32 v81, vcc_lo, v84, s12
	s_wait_alu depctr_va_vcc(0)
	v_add_co_ci_u32_e64 v82, null, s13, v85, vcc_lo
	;; [unrolled: 8-line block ×4, first 2 shown]
	s_wait_loadcnt 0x0
	s_clause 0x1                            ; 8-byte Folded Spill
	scratch_store_b32 off, v1, off offset:496
	scratch_store_b32 off, v69, off offset:272
	.loc	1 48 21                         ; attention_bwd.py:48:21 @[ attention_bwd.py:200:26 ]
	global_load_u16 v1, v[81:82], off
	.loc	1 69 26                         ; attention_bwd.py:69:26 @[ attention_bwd.py:200:26 ]
	s_wait_loadcnt 0x0
	scratch_store_b32 off, v1, off offset:504 ; 4-byte Folded Spill
	s_wait_storecnt_dscnt 0x0
	s_barrier_signal -1
	s_barrier_wait -1
	global_inv scope:SCOPE_SE
	s_clause 0x6                            ; 112-byte Folded Reload
	scratch_load_b128 v[135:138], off, off offset:824
	scratch_load_b128 v[192:195], off, off offset:808
	;; [unrolled: 1-line block ×7, first 2 shown]
	.loc	1 66 24                         ; attention_bwd.py:66:24 @[ attention_bwd.py:200:26 ]
	ds_load_b128 v[112:115], v211 offset:8192
	ds_load_b128 v[116:119], v211 offset:8224
	s_wait_loadcnt_dscnt 0x601
	v_wmma_f32_16x16x16_f16 v[81:88], v[112:115], v[135:138], 0
	s_wait_loadcnt_dscnt 0x500
	s_delay_alu instid0(VALU_DEP_1)
	v_wmma_f32_16x16x16_f16 v[81:88], v[116:119], v[192:195], v[81:88]
	ds_load_b128 v[112:115], v211 offset:8256
	ds_load_b128 v[116:119], v211 offset:8288
	s_wait_loadcnt_dscnt 0x401
	v_wmma_f32_16x16x16_f16 v[81:88], v[112:115], v[125:128], v[81:88]
	s_wait_loadcnt_dscnt 0x300
	s_delay_alu instid0(VALU_DEP_1)
	v_wmma_f32_16x16x16_f16 v[81:88], v[116:119], v[196:199], v[81:88]
	;; [unrolled: 7-line block ×3, first 2 shown]
	ds_load_b128 v[112:115], v211 offset:8384
	ds_load_b128 v[116:119], v211 offset:8416
	s_wait_loadcnt_dscnt 0x1
	v_wmma_f32_16x16x16_f16 v[81:88], v[112:115], v[68:71], v[81:88]
	s_wait_dscnt 0x0
	s_delay_alu instid0(VALU_DEP_1)
	v_wmma_f32_16x16x16_f16 v[81:88], v[116:119], v[121:124], v[81:88]
	ds_load_b128 v[112:115], v211 offset:12288
	ds_load_b128 v[116:119], v211 offset:12320
	.loc	1 67 26                         ; attention_bwd.py:67:26 @[ attention_bwd.py:200:26 ]
	v_sub_f32_e32 v1, v81, v89
	v_dual_sub_f32 v65, v82, v90 :: v_dual_mov_b32 v90, v173
	v_mov_b32_e32 v89, v172
	scratch_store_b32 off, v1, off offset:512 ; 4-byte Folded Spill
	v_sub_f32_e32 v1, v83, v91
	v_mov_b32_e32 v91, v174
	scratch_store_b32 off, v1, off offset:520 ; 4-byte Folded Spill
	v_dual_sub_f32 v1, v84, v92 :: v_dual_mov_b32 v92, v175
	scratch_store_b32 off, v1, off offset:528 ; 4-byte Folded Spill
	v_sub_f32_e32 v1, v85, v93
	v_mov_b32_e32 v93, v20
	scratch_load_b32 v20, off, off offset:856 ; 4-byte Folded Reload
	scratch_store_b32 off, v1, off offset:536 ; 4-byte Folded Spill
	v_dual_sub_f32 v1, v86, v94 :: v_dual_mov_b32 v94, v21
	scratch_store_b32 off, v1, off offset:544 ; 4-byte Folded Spill
	v_sub_f32_e32 v1, v87, v95
	v_mov_b32_e32 v95, v22
	scratch_store_b32 off, v1, off offset:552 ; 4-byte Folded Spill
	v_sub_f32_e32 v1, v88, v96
	.loc	1 66 24                         ; attention_bwd.py:66:24 @[ attention_bwd.py:200:26 ]
	s_wait_dscnt 0x1
	v_wmma_f32_16x16x16_f16 v[81:88], v[112:115], v[135:138], 0
	v_mov_b32_e32 v96, v23
	s_wait_dscnt 0x0
	s_delay_alu instid0(VALU_DEP_2)
	v_wmma_f32_16x16x16_f16 v[81:88], v[116:119], v[192:195], v[81:88]
	ds_load_b128 v[112:115], v211 offset:12352
	ds_load_b128 v[116:119], v211 offset:12384
	v_mov_b32_e32 v192, v56
	v_mov_b32_e32 v56, v108
	s_wait_dscnt 0x1
	v_wmma_f32_16x16x16_f16 v[81:88], v[112:115], v[125:128], v[81:88]
	s_wait_dscnt 0x0
	s_delay_alu instid0(VALU_DEP_1)
	v_wmma_f32_16x16x16_f16 v[81:88], v[116:119], v[196:199], v[81:88]
	ds_load_b128 v[112:115], v211 offset:12416
	ds_load_b128 v[116:119], v211 offset:12448
	s_wait_dscnt 0x1
	v_wmma_f32_16x16x16_f16 v[81:88], v[112:115], v[139:142], v[81:88]
	s_wait_dscnt 0x0
	s_delay_alu instid0(VALU_DEP_1)
	v_wmma_f32_16x16x16_f16 v[81:88], v[116:119], v[98:101], v[81:88]
	ds_load_b128 v[112:115], v211 offset:12480
	ds_load_b128 v[116:119], v211 offset:12512
	v_mov_b32_e32 v100, v222
	scratch_store_b32 off, v1, off offset:560 ; 4-byte Folded Spill
	v_mov_b32_e32 v98, v220
	s_wait_dscnt 0x1
	v_wmma_f32_16x16x16_f16 v[81:88], v[112:115], v[68:71], v[81:88]
	v_mov_b32_e32 v70, v102
	v_mov_b32_e32 v102, v223
	;; [unrolled: 1-line block ×3, first 2 shown]
	s_wait_dscnt 0x0
	v_wmma_f32_16x16x16_f16 v[81:88], v[116:119], v[121:124], v[81:88]
	s_delay_alu instid0(VALU_DEP_1)
	.loc	1 67 26                         ; attention_bwd.py:67:26 @[ attention_bwd.py:200:26 ]
	v_sub_f32_e32 v1, v81, v89
	scratch_store_b32 off, v1, off offset:568 ; 4-byte Folded Spill
	v_sub_f32_e32 v1, v82, v90
	scratch_store_b32 off, v1, off offset:576 ; 4-byte Folded Spill
	v_sub_f32_e32 v1, v83, v91
	scratch_store_b32 off, v1, off offset:584 ; 4-byte Folded Spill
	v_sub_f32_e32 v1, v84, v92
	scratch_store_b32 off, v1, off offset:592 ; 4-byte Folded Spill
	v_sub_f32_e32 v1, v85, v93
	.loc	1 48 21                         ; attention_bwd.py:48:21 @[ attention_bwd.py:200:26 ]
	ds_load_u16 v113, v207 offset:128
	ds_load_u16 v112, v207
	ds_load_u16 v114, v207 offset:256
	ds_load_u16 v115, v207 offset:384
	ds_load_u16 v116, v207 offset:1024
	ds_load_u16 v118, v207 offset:1280
	ds_load_u16 v119, v207 offset:1408
	ds_load_u16 v89, v207 offset:2048
	ds_load_u16 v90, v207 offset:2176
	ds_load_u16 v91, v207 offset:2304
	ds_load_u16 v93, v207 offset:3072
	ds_load_u16 v122, v207 offset:2336
	ds_load_u16 v121, v207 offset:2208
	ds_load_u16 v117, v207 offset:1152
	ds_load_u16 v124, v207 offset:1056
	s_wait_dscnt 0x1
	ds_load_u16_d16_hi v117, v207 offset:1216
	s_wait_dscnt 0x1
	ds_load_u16_d16_hi v124, v207 offset:1120
	ds_load_u16 v131, v207 offset:416
	ds_load_u16 v128, v207 offset:32
	ds_load_u16_d16_hi v113, v207 offset:192
	ds_load_u16_d16_hi v112, v207 offset:64
	ds_load_u16 v130, v207 offset:288
	ds_load_u16 v129, v207 offset:160
	ds_load_u16_d16_hi v114, v207 offset:320
	ds_load_u16_d16_hi v115, v207 offset:448
	;; [unrolled: 1-line block ×3, first 2 shown]
	ds_load_u16 v125, v207 offset:1184
	ds_load_u16_d16_hi v122, v207 offset:2400
	ds_load_u16_d16_hi v118, v207 offset:1344
	;; [unrolled: 1-line block ×3, first 2 shown]
	ds_load_u16 v120, v207 offset:2080
	ds_load_u16 v127, v207 offset:1440
	;; [unrolled: 1-line block ×4, first 2 shown]
	ds_load_u16_d16_hi v89, v207 offset:2112
	ds_load_u16_d16_hi v90, v207 offset:2240
	ds_load_u16_d16_hi v91, v207 offset:2368
	.loc	1 67 26                         ; attention_bwd.py:67:26 @[ attention_bwd.py:200:26 ]
	scratch_store_b32 off, v1, off offset:600 ; 4-byte Folded Spill
	v_sub_f32_e32 v1, v86, v94
	.loc	1 48 21                         ; attention_bwd.py:48:21 @[ attention_bwd.py:200:26 ]
	s_wait_dscnt 0x3
	ds_load_u16_d16_hi v92, v207 offset:2496
	ds_load_u16 v123, v207 offset:2464
	ds_load_u16_d16_hi v121, v207 offset:2272
	ds_load_u16_d16_hi v125, v207 offset:1248
	;; [unrolled: 1-line block ×5, first 2 shown]
	.loc	1 67 26                         ; attention_bwd.py:67:26 @[ attention_bwd.py:200:26 ]
	scratch_store_b32 off, v1, off offset:608 ; 4-byte Folded Spill
	v_sub_f32_e32 v1, v87, v95
	.loc	1 48 21                         ; attention_bwd.py:48:21 @[ attention_bwd.py:200:26 ]
	ds_load_u16_d16_hi v131, v207 offset:480
	ds_load_u16_d16_hi v128, v207 offset:96
	;; [unrolled: 1-line block ×4, first 2 shown]
	.loc	1 67 26                         ; attention_bwd.py:67:26 @[ attention_bwd.py:200:26 ]
	scratch_store_b32 off, v1, off offset:616 ; 4-byte Folded Spill
	v_sub_f32_e32 v1, v88, v96
	.loc	1 52 24                         ; attention_bwd.py:52:24 @[ attention_bwd.py:200:26 ]
	v_wmma_f32_16x16x16_f16 v[81:88], v[112:115], v[248:251], 0
	.loc	1 48 21                         ; attention_bwd.py:48:21 @[ attention_bwd.py:200:26 ]
	scratch_store_b32 off, v1, off offset:624 ; 4-byte Folded Spill
	.loc	1 52 24                         ; attention_bwd.py:52:24 @[ attention_bwd.py:200:26 ]
	v_wmma_f32_16x16x16_f16 v[81:88], v[116:119], v[188:191], v[81:88]
	.loc	1 48 21                         ; attention_bwd.py:48:21 @[ attention_bwd.py:200:26 ]
	s_wait_dscnt 0x9
	ds_load_u16_d16_hi v123, v207 offset:2528
	v_mov_b32_e32 v1, v104
	.loc	1 52 24                         ; attention_bwd.py:52:24 @[ attention_bwd.py:200:26 ]
	v_wmma_f32_16x16x16_f16 v[81:88], v[89:92], v[176:179], v[81:88]
	.loc	1 48 21                         ; attention_bwd.py:48:21 @[ attention_bwd.py:200:26 ]
	ds_load_u16 v94, v207 offset:3200
	ds_load_u16 v95, v207 offset:3328
	;; [unrolled: 1-line block ×6, first 2 shown]
	s_wait_dscnt 0x0
	ds_load_u16_d16_hi v112, v207 offset:4192
	ds_load_u16_d16_hi v93, v207 offset:3136
	;; [unrolled: 1-line block ×3, first 2 shown]
	ds_load_u16 v119, v207 offset:3488
	ds_load_u16 v118, v207 offset:3360
	ds_load_u16 v117, v207 offset:3232
	ds_load_u16_d16_hi v95, v207 offset:3392
	ds_load_u16_d16_hi v96, v207 offset:3520
	ds_load_u16 v113, v207 offset:4256
	s_wait_dscnt 0x5
	ds_load_u16_d16_hi v119, v207 offset:3552
	ds_load_u16 v116, v207 offset:3104
	s_wait_dscnt 0x6
	ds_load_u16_d16_hi v118, v207 offset:3424
	s_wait_dscnt 0x1
	ds_load_u16_d16_hi v116, v207 offset:3168
	ds_load_u16_d16_hi v117, v207 offset:3296
	.loc	1 52 24                         ; attention_bwd.py:52:24 @[ attention_bwd.py:200:26 ]
	v_wmma_f32_16x16x16_f16 v[81:88], v[93:96], v[168:171], v[81:88]
	.loc	1 48 21                         ; attention_bwd.py:48:21 @[ attention_bwd.py:200:26 ]
	ds_load_u16 v90, v207 offset:4224
	ds_load_u16 v92, v207 offset:4480
	;; [unrolled: 1-line block ×8, first 2 shown]
	ds_load_u16_d16_hi v89, v207 offset:4160
	s_wait_dscnt 0x8
	ds_load_u16_d16_hi v90, v207 offset:4288
	s_wait_dscnt 0x3
	ds_load_u16_d16_hi v138, v207 offset:5472
	ds_load_u16_d16_hi v91, v207 offset:4416
	;; [unrolled: 1-line block ×3, first 2 shown]
	ds_load_u16 v136, v207 offset:5152
	ds_load_u16 v115, v207 offset:4512
	;; [unrolled: 1-line block ×4, first 2 shown]
	ds_load_u16_d16_hi v93, v207 offset:5184
	ds_load_u16_d16_hi v94, v207 offset:5312
	;; [unrolled: 1-line block ×3, first 2 shown]
	s_wait_dscnt 0x3
	ds_load_u16_d16_hi v96, v207 offset:5568
	ds_load_u16 v139, v207 offset:5536
	ds_load_u16_d16_hi v137, v207 offset:5344
	ds_load_u16_d16_hi v113, v207 offset:4320
	;; [unrolled: 1-line block ×5, first 2 shown]
	.loc	1 52 24                         ; attention_bwd.py:52:24 @[ attention_bwd.py:200:26 ]
	v_wmma_f32_16x16x16_f16 v[81:88], v[89:92], v[152:155], v[81:88]
	s_wait_dscnt 0x6
	s_delay_alu instid0(VALU_DEP_1)
	v_wmma_f32_16x16x16_f16 v[81:88], v[93:96], v[148:151], v[81:88]
	.loc	1 48 21                         ; attention_bwd.py:48:21 @[ attention_bwd.py:200:26 ]
	ds_load_u16 v133, v207 offset:6272
	ds_load_u16 v134, v207 offset:6400
	;; [unrolled: 1-line block ×6, first 2 shown]
	s_wait_dscnt 0x0
	ds_load_u16_d16_hi v93, v207 offset:7264
	ds_load_u16_d16_hi v132, v207 offset:6208
	;; [unrolled: 1-line block ×3, first 2 shown]
	ds_load_u16 v143, v207 offset:6560
	ds_load_u16 v142, v207 offset:6432
	;; [unrolled: 1-line block ×3, first 2 shown]
	ds_load_u16_d16_hi v134, v207 offset:6464
	ds_load_u16_d16_hi v135, v207 offset:6592
	ds_load_u16 v94, v207 offset:7328
	s_wait_dscnt 0x5
	ds_load_u16_d16_hi v143, v207 offset:6624
	ds_load_u16 v140, v207 offset:6176
	s_wait_dscnt 0x6
	ds_load_u16_d16_hi v142, v207 offset:6496
	ds_load_u16_d16_hi v139, v207 offset:5600
	s_wait_dscnt 0x2
	ds_load_u16_d16_hi v140, v207 offset:6240
	ds_load_u16_d16_hi v141, v207 offset:6368
	.loc	1 52 24                         ; attention_bwd.py:52:24 @[ attention_bwd.py:200:26 ]
	v_wmma_f32_16x16x16_f16 v[81:88], v[132:135], v[164:167], v[81:88]
	.loc	1 48 21                         ; attention_bwd.py:48:21 @[ attention_bwd.py:200:26 ]
	ds_load_u16 v90, v207 offset:7296
	ds_load_u16 v92, v207 offset:7552
	.loc	1 58 21                         ; attention_bwd.py:58:21 @[ attention_bwd.py:200:26 ]
	ds_load_u16 v132, v209 offset:8192
	ds_load_u16 v133, v209 offset:8704
	.loc	1 48 21                         ; attention_bwd.py:48:21 @[ attention_bwd.py:200:26 ]
	ds_load_u16_d16_hi v89, v207 offset:7232
	s_wait_dscnt 0x4
	ds_load_u16_d16_hi v90, v207 offset:7360
	.loc	1 58 21                         ; attention_bwd.py:58:21 @[ attention_bwd.py:200:26 ]
	ds_load_u16 v97, v209 offset:8384
	.loc	1 48 21                         ; attention_bwd.py:48:21 @[ attention_bwd.py:200:26 ]
	ds_load_u16_d16_hi v91, v207 offset:7488
	s_wait_dscnt 0x6
	ds_load_u16_d16_hi v92, v207 offset:7616
	ds_load_u16 v95, v207 offset:7456
	.loc	1 58 21                         ; attention_bwd.py:58:21 @[ attention_bwd.py:200:26 ]
	s_wait_dscnt 0x7
	ds_load_u16_d16_hi v132, v209 offset:8448
	ds_load_u16 v101, v209 offset:8256
	.loc	1 48 21                         ; attention_bwd.py:48:21 @[ attention_bwd.py:200:26 ]
	ds_load_u16 v96, v207 offset:7584
	.loc	1 58 21                         ; attention_bwd.py:58:21 @[ attention_bwd.py:200:26 ]
	;; [unrolled: 2-line block ×3, first 2 shown]
	s_wait_loadcnt 0x0
	v_add_nc_u32_e32 v181, s104, v20
	s_wait_alu depctr_sa_sdst(0)
	v_add_nc_u32_e32 v163, s101, v20
	.loc	1 52 24                         ; attention_bwd.py:52:24 @[ attention_bwd.py:200:26 ]
	s_wait_dscnt 0x5
	v_wmma_f32_16x16x16_f16 v[81:88], v[89:92], v[144:147], v[81:88]
	v_mov_b32_e32 v91, v214
	v_dual_mov_b32 v89, v212 :: v_dual_mov_b32 v90, v213
	v_mov_b32_e32 v92, v215
	s_delay_alu instid0(VALU_DEP_3) | instskip(SKIP_1) | instid1(VALU_DEP_4)
	.loc	1 53 32                         ; attention_bwd.py:53:32 @[ attention_bwd.py:200:26 ]
	v_dual_sub_f32 v98, v85, v98 :: v_dual_sub_f32 v105, v83, v91
	v_mov_b32_e32 v91, v217
	v_dual_mov_b32 v99, v221 :: v_dual_sub_f32 v104, v82, v90
	s_delay_alu instid0(VALU_DEP_4) | instskip(SKIP_1) | instid1(VALU_DEP_3)
	v_sub_f32_e32 v92, v84, v92
	v_sub_f32_e32 v100, v87, v100
	v_dual_sub_f32 v102, v88, v102 :: v_dual_sub_f32 v99, v86, v99
	v_dual_mov_b32 v90, v216 :: v_dual_mov_b32 v69, v103
	v_sub_f32_e32 v103, v81, v89
	.loc	1 52 24                         ; attention_bwd.py:52:24 @[ attention_bwd.py:200:26 ]
	v_wmma_f32_16x16x16_f16 v[81:88], v[128:131], v[248:251], 0
	.loc	1 58 21                         ; attention_bwd.py:58:21 @[ attention_bwd.py:200:26 ]
	s_wait_dscnt 0x0
	ds_load_u16_d16_hi v134, v209 offset:9472
	ds_load_u16_d16_hi v133, v209 offset:8960
	.loc	1 48 21                         ; attention_bwd.py:48:21 @[ attention_bwd.py:200:26 ]
	ds_load_u16_d16_hi v94, v207 offset:7392
	ds_load_u16_d16_hi v95, v207 offset:7520
	;; [unrolled: 1-line block ×3, first 2 shown]
	.loc	1 58 21                         ; attention_bwd.py:58:21 @[ attention_bwd.py:200:26 ]
	ds_load_u16_d16_hi v101, v209 offset:8512
	ds_load_u16 v89, v209 offset:8320
	v_dual_mov_b32 v212, v185 :: v_dual_mov_b32 v217, v107
	.loc	1 52 24                         ; attention_bwd.py:52:24 @[ attention_bwd.py:200:26 ]
	v_wmma_f32_16x16x16_f16 v[81:88], v[124:127], v[188:191], v[81:88]
	v_mov_b32_e32 v107, v235
	.loc	1 53 26                         ; attention_bwd.py:53:26 @[ attention_bwd.py:200:26 ]
	v_exp_f32_e32 v180, v104
	v_exp_f32_e32 v208, v92
	;; [unrolled: 1-line block ×3, first 2 shown]
	.loc	1 52 24                         ; attention_bwd.py:52:24 @[ attention_bwd.py:200:26 ]
	v_wmma_f32_16x16x16_f16 v[81:88], v[120:123], v[176:179], v[81:88]
	s_delay_alu instid0(VALU_DEP_1) | instskip(NEXT) | instid1(TRANS32_DEP_3)
	v_wmma_f32_16x16x16_f16 v[81:88], v[116:119], v[168:171], v[81:88]
	.loc	1 68 21                         ; attention_bwd.py:68:21 @[ attention_bwd.py:200:26 ]
	v_fma_mixlo_f16 v65, v180, v65, 0
	s_delay_alu instid0(VALU_DEP_2) | instskip(NEXT) | instid1(VALU_DEP_1)
	.loc	1 52 24                         ; attention_bwd.py:52:24 @[ attention_bwd.py:200:26 ]
	v_wmma_f32_16x16x16_f16 v[81:88], v[112:115], v[152:155], v[81:88]
	v_wmma_f32_16x16x16_f16 v[81:88], v[136:139], v[148:151], v[81:88]
	s_delay_alu instid0(VALU_DEP_1) | instskip(SKIP_1) | instid1(VALU_DEP_1)
	v_wmma_f32_16x16x16_f16 v[81:88], v[140:143], v[164:167], v[81:88]
	s_wait_dscnt 0x2
	v_wmma_f32_16x16x16_f16 v[81:88], v[93:96], v[144:147], v[81:88]
	v_dual_mov_b32 v93, v218 :: v_dual_mov_b32 v94, v219
	v_dual_mov_b32 v95, v232 :: v_dual_mov_b32 v96, v233
	s_delay_alu instid0(VALU_DEP_3)
	.loc	1 53 32                         ; attention_bwd.py:53:32 @[ attention_bwd.py:200:26 ]
	v_sub_f32_e32 v108, v81, v90
	.loc	1 73 19                         ; attention_bwd.py:73:19 @[ attention_bwd.py:200:26 ]
	v_add_co_u32 v81, vcc_lo, v204, s12
	.loc	1 53 32                         ; attention_bwd.py:53:32 @[ attention_bwd.py:200:26 ]
	v_sub_f32_e32 v120, v82, v91
	.loc	1 73 19                         ; attention_bwd.py:73:19 @[ attention_bwd.py:200:26 ]
	s_wait_alu depctr_va_vcc(0)
	v_add_co_ci_u32_e64 v82, null, s13, v2, vcc_lo
	.loc	1 53 32                         ; attention_bwd.py:53:32 @[ attention_bwd.py:200:26 ]
	v_dual_sub_f32 v94, v84, v94 :: v_dual_sub_f32 v95, v85, v95
	v_sub_f32_e32 v96, v86, v96
	.loc	1 58 21                         ; attention_bwd.py:58:21 @[ attention_bwd.py:200:26 ]
	global_load_u16 v3, v[81:82], off
	.loc	1 73 19                         ; attention_bwd.py:73:19 @[ attention_bwd.py:200:26 ]
	v_add_co_u32 v81, vcc_lo, v226, s12
	s_wait_alu depctr_va_vcc(0)
	v_add_co_ci_u32_e64 v82, null, s13, v227, vcc_lo
	.loc	1 53 32                         ; attention_bwd.py:53:32 @[ attention_bwd.py:200:26 ]
	v_dual_sub_f32 v106, v87, v106 :: v_dual_sub_f32 v107, v88, v107
	.loc	1 53 26 is_stmt 0               ; attention_bwd.py:53:26 @[ attention_bwd.py:200:26 ]
	v_exp_f32_e32 v182, v103
	v_exp_f32_e32 v110, v99
	;; [unrolled: 1-line block ×3, first 2 shown]
	s_delay_alu instid0(VALU_DEP_1)
	v_exp_f32_e32 v161, v106
	v_exp_f32_e32 v156, v120
	;; [unrolled: 1-line block ×4, first 2 shown]
	.loc	1 73 19 is_stmt 1               ; attention_bwd.py:73:19 @[ attention_bwd.py:200:26 ]
	s_wait_loadcnt 0x0
	scratch_store_b32 off, v3, off offset:632 ; 4-byte Folded Spill
	.loc	1 58 21                         ; attention_bwd.py:58:21 @[ attention_bwd.py:200:26 ]
	global_load_u16 v3, v[81:82], off
	.loc	1 73 19                         ; attention_bwd.py:73:19 @[ attention_bwd.py:200:26 ]
	v_add_co_u32 v81, vcc_lo, v247, s12
	s_wait_alu depctr_va_vcc(0)
	v_add_co_ci_u32_e64 v82, null, s13, v185, vcc_lo
	.loc	1 53 26                         ; attention_bwd.py:53:26 @[ attention_bwd.py:200:26 ]
	v_exp_f32_e32 v185, v102
	.loc	1 73 19                         ; attention_bwd.py:73:19 @[ attention_bwd.py:200:26 ]
	s_wait_loadcnt 0x0
	scratch_store_b32 off, v3, off offset:640 ; 4-byte Folded Spill
	.loc	1 58 21                         ; attention_bwd.py:58:21 @[ attention_bwd.py:200:26 ]
	global_load_u16 v3, v[81:82], off
	.loc	1 73 19                         ; attention_bwd.py:73:19 @[ attention_bwd.py:200:26 ]
	v_add_co_u32 v81, vcc_lo, v245, s12
	s_wait_alu depctr_va_vcc(0)
	v_add_co_ci_u32_e64 v82, null, s13, v246, vcc_lo
	s_wait_loadcnt 0x0
	scratch_store_b32 off, v3, off offset:648 ; 4-byte Folded Spill
	.loc	1 58 21                         ; attention_bwd.py:58:21 @[ attention_bwd.py:200:26 ]
	global_load_u16 v3, v[81:82], off
	.loc	1 73 19                         ; attention_bwd.py:73:19 @[ attention_bwd.py:200:26 ]
	v_add_co_u32 v81, vcc_lo, v243, s12
	s_wait_alu depctr_va_vcc(0)
	v_add_co_ci_u32_e64 v82, null, s13, v244, vcc_lo
	;; [unrolled: 8-line block ×4, first 2 shown]
	v_mov_b32_e32 v78, v77
	s_wait_loadcnt 0x0
	scratch_store_b32 off, v3, off offset:672 ; 4-byte Folded Spill
	.loc	1 58 21                         ; attention_bwd.py:58:21 @[ attention_bwd.py:200:26 ]
	global_load_u16 v3, v[81:82], off
	.loc	1 73 19                         ; attention_bwd.py:73:19 @[ attention_bwd.py:200:26 ]
	v_add_co_u32 v81, vcc_lo, v76, s12
	s_wait_alu depctr_va_vcc(0)
	v_add_co_ci_u32_e64 v82, null, s13, v77, vcc_lo
	v_dual_mov_b32 v77, v76 :: v_dual_mov_b32 v76, v109
	.loc	1 53 32                         ; attention_bwd.py:53:32 @[ attention_bwd.py:200:26 ]
	v_sub_f32_e32 v93, v83, v93
	s_delay_alu instid0(VALU_DEP_1)
	.loc	1 53 26 is_stmt 0               ; attention_bwd.py:53:26 @[ attention_bwd.py:200:26 ]
	v_exp_f32_e32 v157, v93
	.loc	1 73 19 is_stmt 1               ; attention_bwd.py:73:19 @[ attention_bwd.py:200:26 ]
	s_wait_loadcnt 0x0
	scratch_store_b32 off, v3, off offset:680 ; 4-byte Folded Spill
	.loc	1 58 21                         ; attention_bwd.py:58:21 @[ attention_bwd.py:200:26 ]
	global_load_u16 v3, v[81:82], off
	.loc	1 73 19                         ; attention_bwd.py:73:19 @[ attention_bwd.py:200:26 ]
	v_add_co_u32 v81, vcc_lo, v80, s12
	s_wait_alu depctr_va_vcc(0)
	v_add_co_ci_u32_e64 v82, null, s13, v109, vcc_lo
	.loc	1 53 26                         ; attention_bwd.py:53:26 @[ attention_bwd.py:200:26 ]
	v_exp_f32_e32 v109, v100
	v_mov_b32_e32 v80, v30
	v_exp_f32_e32 v159, v95
	.loc	1 58 21                         ; attention_bwd.py:58:21 @[ attention_bwd.py:200:26 ]
	global_load_u16 v224, v[81:82], off
	.loc	1 73 19                         ; attention_bwd.py:73:19 @[ attention_bwd.py:200:26 ]
	v_add_co_u32 v82, vcc_lo, v79, s12
	s_wait_alu depctr_va_vcc(0)
	v_add_co_ci_u32_e64 v83, null, s13, v75, vcc_lo
	v_mov_b32_e32 v79, v29
	.loc	1 58 21                         ; attention_bwd.py:58:21 @[ attention_bwd.py:200:26 ]
	global_load_u16 v219, v[82:83], off
	.loc	1 73 19                         ; attention_bwd.py:73:19 @[ attention_bwd.py:200:26 ]
	v_add_co_u32 v83, vcc_lo, v73, s12
	s_wait_alu depctr_va_vcc(0)
	v_add_co_ci_u32_e64 v84, null, s13, v74, vcc_lo
	s_wait_loadcnt 0x2
	scratch_store_b32 off, v3, off offset:688 ; 4-byte Folded Spill
	.loc	1 58 21                         ; attention_bwd.py:58:21 @[ attention_bwd.py:200:26 ]
	global_load_u16 v3, v[83:84], off
	.loc	1 73 19                         ; attention_bwd.py:73:19 @[ attention_bwd.py:200:26 ]
	v_add_co_u32 v84, vcc_lo, v66, s12
	s_wait_alu depctr_va_vcc(0)
	v_add_co_ci_u32_e64 v85, null, s13, v72, vcc_lo
	.loc	1 53 26                         ; attention_bwd.py:53:26 @[ attention_bwd.py:200:26 ]
	v_exp_f32_e32 v66, v105
	.loc	1 73 19                         ; attention_bwd.py:73:19 @[ attention_bwd.py:200:26 ]
	s_wait_loadcnt 0x0
	scratch_store_b32 off, v3, off offset:696 ; 4-byte Folded Spill
	.loc	1 58 21                         ; attention_bwd.py:58:21 @[ attention_bwd.py:200:26 ]
	global_load_u16 v3, v[84:85], off
	.loc	1 73 19                         ; attention_bwd.py:73:19 @[ attention_bwd.py:200:26 ]
	v_add_co_u32 v85, vcc_lo, v26, s12
	s_wait_alu depctr_va_vcc(0)
	v_add_co_ci_u32_e64 v86, null, s13, v27, vcc_lo
	.loc	1 58 21                         ; attention_bwd.py:58:21 @[ attention_bwd.py:200:26 ]
	global_load_u16 v197, v[85:86], off
	.loc	1 73 19                         ; attention_bwd.py:73:19 @[ attention_bwd.py:200:26 ]
	v_add_co_u32 v86, vcc_lo, v31, s12
	s_wait_alu depctr_va_vcc(0)
	v_add_co_ci_u32_e64 v87, null, s13, v25, vcc_lo
	;; [unrolled: 6-line block ×3, first 2 shown]
	.loc	1 48 21                         ; attention_bwd.py:48:21 @[ attention_bwd.py:200:26 ]
	v_add_co_u32 v90, vcc_lo, v24, s12
	s_wait_alu depctr_va_vcc(0)
	v_add_co_ci_u32_e64 v91, null, s13, v28, vcc_lo
	.loc	1 51 24                         ; attention_bwd.py:51:24 @[ attention_bwd.py:200:26 ]
	v_add_co_u32 v105, vcc_lo, v0, s86
	s_wait_alu depctr_va_vcc(0)
	v_add_co_ci_u32_e64 v106, null, s87, v67, vcc_lo
	.loc	1 51 20 is_stmt 0               ; attention_bwd.py:51:20 @[ attention_bwd.py:200:26 ]
	s_clause 0x2
	global_load_b128 v[193:196], v[105:106], off offset:128
	global_load_b128 v[220:223], v[105:106], off offset:144
	;; [unrolled: 1-line block ×3, first 2 shown]
	.loc	1 58 21 is_stmt 1               ; attention_bwd.py:58:21 @[ attention_bwd.py:200:26 ]
	global_load_u16 v218, v[90:91], off
	.loc	1 61 21                         ; attention_bwd.py:61:21 @[ attention_bwd.py:200:26 ]
	v_cvt_f16_f32_e64 v90, v182
	v_cvt_f16_f32_e64 v91, v180
	v_mov_b32_e32 v30, v26
	v_mov_b32_e32 v26, v73
	.loc	1 53 26                         ; attention_bwd.py:53:26 @[ attention_bwd.py:200:26 ]
	v_exp_f32_e32 v162, v107
	.loc	1 61 21                         ; attention_bwd.py:61:21 @[ attention_bwd.py:200:26 ]
	ds_store_b16 v181, v90 offset:16384
	v_cvt_f16_f32_e32 v90, v66
	ds_store_b16 v181, v91 offset:16512
	v_cvt_f16_f32_e64 v91, v208
	v_mov_b32_e32 v29, v25
	v_mov_b32_e32 v25, v72
	ds_store_b16 v181, v90 offset:16640
	v_cvt_f16_f32_e32 v90, v111
	ds_store_b16 v181, v91 offset:16768
	v_cvt_f16_f32_e32 v91, v110
	.loc	1 58 21                         ; attention_bwd.py:58:21 @[ attention_bwd.py:200:26 ]
	global_load_u16 v199, v[87:88], off
	.loc	1 61 21                         ; attention_bwd.py:61:21 @[ attention_bwd.py:200:26 ]
	ds_store_b16 v181, v90 offset:16896
	v_cvt_f16_f32_e32 v90, v109
	ds_store_b16 v181, v91 offset:17024
	v_cvt_f16_f32_e64 v91, v185
	ds_store_b16 v181, v90 offset:17152
	ds_store_b16 v181, v91 offset:17280
	v_cvt_f16_f32_e64 v90, v183
	v_cvt_f16_f32_e64 v91, v156
	ds_store_b16 v181, v90 offset:18432
	v_cvt_f16_f32_e64 v90, v157
	ds_store_b16 v181, v91 offset:18560
	;; [unrolled: 2-line block ×7, first 2 shown]
	ds_store_b16 v181, v91 offset:19328
	.loc	1 58 21                         ; attention_bwd.py:58:21 @[ attention_bwd.py:200:26 ]
	ds_load_u16 v102, v209 offset:8768
	ds_load_u16 v135, v209 offset:9728
	;; [unrolled: 1-line block ×26, first 2 shown]
	ds_load_u16_d16_hi v97, v209 offset:8640
	s_wait_dscnt 0x18
	ds_load_u16_d16_hi v98, v209 offset:9152
	ds_load_u16_d16_hi v135, v209 offset:9984
	s_wait_dscnt 0x19
	ds_load_u16_d16_hi v103, v209 offset:9536
	s_wait_dscnt 0x13
	;; [unrolled: 2-line block ×3, first 2 shown]
	ds_load_u16_d16_hi v104, v209 offset:10048
	ds_load_u16_d16_hi v94, v209 offset:13056
	;; [unrolled: 1-line block ×7, first 2 shown]
	s_wait_dscnt 0x17
	ds_load_u16_d16_hi v123, v209 offset:14144
	ds_load_u16_d16_hi v102, v209 offset:9024
	;; [unrolled: 1-line block ×3, first 2 shown]
	s_wait_dscnt 0x19
	ds_load_u16_d16_hi v92, v209 offset:10112
	s_wait_dscnt 0x17
	ds_load_u16_d16_hi v124, v209 offset:12672
	;; [unrolled: 2-line block ×3, first 2 shown]
	ds_load_u16_d16_hi v126, v209 offset:13696
	s_wait_dscnt 0x15
	ds_load_u16_d16_hi v127, v209 offset:14208
	ds_load_u16_d16_hi v89, v209 offset:8576
	;; [unrolled: 1-line block ×7, first 2 shown]
	s_wait_dscnt 0x1b
	ds_load_u16_d16_hi v130, v209 offset:13760
	s_wait_dscnt 0x1b
	ds_load_u16_d16_hi v131, v209 offset:14272
	.loc	1 73 19                         ; attention_bwd.py:73:19 @[ attention_bwd.py:200:26 ]
	s_wait_loadcnt 0x7
	scratch_store_b32 off, v3, off offset:704 ; 4-byte Folded Spill
	v_dual_mov_b32 v3, v0 :: v_dual_mov_b32 v0, v204
	v_mov_b32_e32 v204, v28
	v_dual_mov_b32 v28, v74 :: v_dual_mov_b32 v71, v144
	v_dual_mov_b32 v72, v145 :: v_dual_mov_b32 v73, v146
	v_mov_b32_e32 v74, v147
	s_wait_loadcnt 0x2
	scratch_store_b128 off, v[81:84], off offset:712 ; 16-byte Folded Spill
	.loc	1 51 20                         ; attention_bwd.py:51:20 @[ attention_bwd.py:200:26 ]
	global_load_b128 v[232:235], v[105:106], off offset:208
	scratch_load_b32 v21, off, off offset:860 ; 4-byte Folded Reload
	.loc	1 69 26                         ; attention_bwd.py:69:26 @[ attention_bwd.py:200:26 ]
	s_wait_loadcnt 0x0
	ds_load_b128 v[136:139], v21
	ds_load_b128 v[140:143], v21 offset:32
	ds_load_b128 v[105:108], v21 offset:2048
	;; [unrolled: 1-line block ×7, first 2 shown]
	v_dual_mov_b32 v20, v176 :: v_dual_mov_b32 v21, v177
	v_dual_mov_b32 v22, v178 :: v_dual_mov_b32 v23, v179
	.loc	1 61 21                         ; attention_bwd.py:61:21 @[ attention_bwd.py:200:26 ]
	s_wait_storecnt_dscnt 0x0
	s_barrier_signal -1
	s_barrier_wait -1
	global_inv scope:SCOPE_SE
	s_clause 0x1                            ; 32-byte Folded Reload
	scratch_load_b128 v[112:115], off, off th:TH_LOAD_LU
	scratch_load_b128 v[116:119], off, off offset:16 th:TH_LOAD_LU
	ds_load_u16 v172, v163 offset:16384
	ds_load_u16 v173, v163 offset:16640
	;; [unrolled: 1-line block ×8, first 2 shown]
	s_wait_dscnt 0x7
	ds_load_u16_d16_hi v172, v163 offset:16512
	s_wait_dscnt 0x7
	ds_load_u16_d16_hi v173, v163 offset:16768
	;; [unrolled: 2-line block ×8, first 2 shown]
	s_clause 0x1                            ; 32-byte Folded Reload
	scratch_load_b128 v[81:84], off, off offset:64 th:TH_LOAD_LU
	scratch_load_b128 v[85:88], off, off offset:80 th:TH_LOAD_LU
	.loc	1 62 26                         ; attention_bwd.py:62:26 @[ attention_bwd.py:200:26 ]
	s_wait_dscnt 0x4
	v_wmma_f32_16x16x16_f16 v[40:47], v[132:135], v[172:175], v[40:47]
	v_mov_b32_e32 v132, v61
	s_wait_dscnt 0x0
	s_delay_alu instid0(VALU_DEP_2)
	v_wmma_f32_16x16x16_f16 v[40:47], v[93:96], v[176:179], v[40:47]
	s_wait_loadcnt 0x2
	v_wmma_f32_16x16x16_f16 v[112:119], v[101:104], v[172:175], v[112:119]
	v_dual_mov_b32 v104, v1 :: v_dual_mov_b32 v1, v57
	v_dual_mov_b32 v101, v58 :: v_dual_mov_b32 v102, v59
	v_mov_b32_e32 v103, v60
	s_clause 0x1                            ; 32-byte Folded Reload
	scratch_load_b128 v[57:60], off, off offset:32 th:TH_LOAD_LU
	scratch_load_b128 v[61:64], off, off offset:48 th:TH_LOAD_LU
	v_wmma_f32_16x16x16_f16 v[112:119], v[120:123], v[176:179], v[112:119]
	s_clause 0x1                            ; 32-byte Folded Spill
	scratch_store_b128 off, v[112:115], off
	scratch_store_b128 off, v[116:119], off offset:16
	scratch_load_b32 v120, off, off offset:96 ; 4-byte Folded Reload
	s_wait_loadcnt 0x3
	v_wmma_f32_16x16x16_f16 v[81:88], v[97:100], v[172:175], v[81:88]
	s_delay_alu instid0(VALU_DEP_1)
	v_wmma_f32_16x16x16_f16 v[81:88], v[128:131], v[176:179], v[81:88]
	s_clause 0x1                            ; 32-byte Folded Spill
	scratch_store_b128 off, v[81:84], off offset:64
	scratch_store_b128 off, v[85:88], off offset:80
	s_wait_loadcnt 0x1
	v_wmma_f32_16x16x16_f16 v[57:64], v[89:92], v[172:175], v[57:64]
	.loc	1 64 25                         ; attention_bwd.py:64:25 @[ attention_bwd.py:200:26 ]
	v_add_co_u32 v89, vcc_lo, v104, s86
	s_delay_alu instid0(VALU_DEP_2)
	.loc	1 62 26                         ; attention_bwd.py:62:26 @[ attention_bwd.py:200:26 ]
	v_wmma_f32_16x16x16_f16 v[57:64], v[124:127], v[176:179], v[57:64]
	s_clause 0x1                            ; 32-byte Folded Spill
	scratch_store_b128 off, v[57:60], off offset:32
	scratch_store_b128 off, v[61:64], off offset:48
	v_mov_b32_e32 v57, v1
	.loc	1 68 21                         ; attention_bwd.py:68:21 @[ attention_bwd.py:200:26 ]
	s_clause 0x1                            ; 20-byte Folded Reload
	scratch_load_b128 v[121:124], off, off offset:840
	scratch_load_b32 v1, off, off offset:512 th:TH_LOAD_LU
	v_mov_b32_e32 v61, v132
	v_mov_b32_e32 v59, v102
	.loc	1 64 25                         ; attention_bwd.py:64:25 @[ attention_bwd.py:200:26 ]
	s_wait_loadcnt 0x2
	s_wait_alu depctr_va_vcc(0)
	v_add_co_ci_u32_e64 v90, null, s87, v120, vcc_lo
	.loc	1 68 21                         ; attention_bwd.py:68:21 @[ attention_bwd.py:200:26 ]
	s_wait_loadcnt 0x0
	v_fma_mixlo_f16 v64, v182, v1, 0
	scratch_load_b32 v1, off, off offset:520 th:TH_LOAD_LU ; 4-byte Folded Reload
	s_wait_loadcnt 0x0
	v_fma_mixlo_f16 v66, v66, v1, 0
	scratch_load_b32 v1, off, off offset:528 th:TH_LOAD_LU ; 4-byte Folded Reload
	;; [unrolled: 3-line block ×6, first 2 shown]
	v_dual_mov_b32 v109, v76 :: v_dual_mov_b32 v76, v77
	v_dual_mov_b32 v77, v78 :: v_dual_mov_b32 v78, v187
	;; [unrolled: 1-line block ×3, first 2 shown]
	v_mov_b32_e32 v58, v101
	v_dual_mov_b32 v178, v22 :: v_dual_mov_b32 v177, v21
	s_wait_loadcnt 0x0
	v_fma_mixlo_f16 v95, v185, v1, 0
	scratch_load_b32 v1, off, off offset:568 th:TH_LOAD_LU ; 4-byte Folded Reload
	v_mov_b32_e32 v185, v212
	s_wait_loadcnt 0x0
	v_fma_mixlo_f16 v96, v183, v1, 0
	scratch_load_b32 v1, off, off offset:576 th:TH_LOAD_LU ; 4-byte Folded Reload
	s_wait_loadcnt 0x0
	v_fma_mixlo_f16 v97, v156, v1, 0
	scratch_load_b32 v1, off, off offset:584 th:TH_LOAD_LU ; 4-byte Folded Reload
	;; [unrolled: 3-line block ×5, first 2 shown]
	.loc	1 64 21                         ; attention_bwd.py:64:21 @[ attention_bwd.py:200:26 ]
	s_clause 0x3
	global_load_b128 v[156:159], v[89:90], off offset:128
	global_load_b128 v[131:134], v[89:90], off offset:144
	;; [unrolled: 1-line block ×4, first 2 shown]
	.loc	1 68 21                         ; attention_bwd.py:68:21 @[ attention_bwd.py:200:26 ]
	s_wait_loadcnt 0x4
	v_fma_mixlo_f16 v101, v160, v1, 0
	scratch_load_b32 v1, off, off offset:616 th:TH_LOAD_LU ; 4-byte Folded Reload
	s_wait_loadcnt 0x0
	v_fma_mixlo_f16 v102, v161, v1, 0
	scratch_load_b32 v1, off, off offset:624 th:TH_LOAD_LU ; 4-byte Folded Reload
	s_wait_loadcnt 0x0
	s_wait_storecnt 0x0
	s_barrier_signal -1
	s_barrier_wait -1
	global_inv scope:SCOPE_SE
	ds_store_b16 v181, v64 offset:16384
	ds_store_b16 v181, v65 offset:16512
	;; [unrolled: 1-line block ×3, first 2 shown]
	v_mov_b32_e32 v66, v186
	v_mov_b32_e32 v60, v103
	v_fma_mixlo_f16 v103, v162, v1, 0
	ds_store_b16 v181, v91 offset:16768
	ds_store_b16 v181, v92 offset:16896
	;; [unrolled: 1-line block ×12, first 2 shown]
	v_mov_b32_e32 v102, v70
	ds_store_b16 v181, v103 offset:19328
	s_wait_loadcnt_dscnt 0x0
	s_barrier_signal -1
	v_mov_b32_e32 v103, v69
	s_barrier_wait -1
	global_inv scope:SCOPE_SE
	ds_load_u16 v89, v163 offset:16384
	ds_load_u16 v90, v163 offset:16640
	;; [unrolled: 1-line block ×8, first 2 shown]
	s_wait_dscnt 0x7
	ds_load_u16_d16_hi v89, v163 offset:16512
	s_wait_dscnt 0x7
	ds_load_u16_d16_hi v90, v163 offset:16768
	;; [unrolled: 2-line block ×8, first 2 shown]
	s_clause 0x5                            ; 24-byte Folded Reload
	scratch_load_b32 v84, off, off offset:144 th:TH_LOAD_LU
	scratch_load_b32 v85, off, off offset:160 th:TH_LOAD_LU
	;; [unrolled: 1-line block ×6, first 2 shown]
	.loc	1 58 21                         ; attention_bwd.py:58:21 @[ attention_bwd.py:200:26 ]
	ds_store_b16 v184, v197 offset:14336
	ds_store_b16 v184, v198 offset:14848
	;; [unrolled: 1-line block ×4, first 2 shown]
	.loc	1 69 26                         ; attention_bwd.py:69:26 @[ attention_bwd.py:200:26 ]
	s_wait_dscnt 0x8
	v_wmma_f32_16x16x16_f16 v[4:11], v[105:108], v[89:92], v[4:11]
	v_wmma_f32_16x16x16_f16 v[12:19], v[136:139], v[89:92], v[12:19]
	;; [unrolled: 1-line block ×4, first 2 shown]
	v_mov_b32_e32 v105, v68
	s_wait_dscnt 0x4
	v_wmma_f32_16x16x16_f16 v[4:11], v[144:147], v[93:96], v[4:11]
	v_mov_b32_e32 v147, v74
	v_wmma_f32_16x16x16_f16 v[12:19], v[140:143], v[93:96], v[12:19]
	v_dual_mov_b32 v146, v73 :: v_dual_mov_b32 v145, v72
	v_mov_b32_e32 v144, v71
	v_mov_b32_e32 v74, v28
	v_wmma_f32_16x16x16_f16 v[48:55], v[200:203], v[93:96], v[48:55]
	v_mov_b32_e32 v28, v204
	v_mov_b32_e32 v204, v0
	;; [unrolled: 1-line block ×3, first 2 shown]
	v_wmma_f32_16x16x16_f16 v[32:39], v[213:216], v[93:96], v[32:39]
	.loc	1 48 21                         ; attention_bwd.py:48:21 @[ attention_bwd.py:200:26 ]
	s_clause 0x4                            ; 20-byte Folded Reload
	scratch_load_b32 v96, off, off offset:220 th:TH_LOAD_LU
	scratch_load_b32 v95, off, off offset:216 th:TH_LOAD_LU
	;; [unrolled: 1-line block ×5, first 2 shown]
	v_mov_b32_e32 v107, v217
	s_clause 0x4                            ; 20-byte Folded Reload
	scratch_load_b32 v92, off, off offset:240 th:TH_LOAD_LU
	scratch_load_b32 v1, off, off offset:224 th:TH_LOAD_LU
	;; [unrolled: 1-line block ×5, first 2 shown]
	.loc	1 47 25                         ; attention_bwd.py:47:25 @[ attention_bwd.py:200:26 ]
	v_add_co_u32 v0, vcc_lo, 0x80, v0
	v_dual_mov_b32 v72, v25 :: v_dual_mov_b32 v25, v29
	v_mov_b32_e32 v29, v79
	s_wait_alu depctr_va_vcc(0)
	v_add_co_ci_u32_e64 v67, null, 0, v67, vcc_lo
	v_add_co_u32 v104, vcc_lo, 0x80, v104
	v_dual_mov_b32 v73, v26 :: v_dual_mov_b32 v26, v30
	v_mov_b32_e32 v30, v80
	s_wait_alu depctr_va_vcc(0)
	v_add_co_ci_u32_e64 v120, null, 0, v120, vcc_lo
	v_add_co_u32 v24, vcc_lo, v24, s18
	s_wait_alu depctr_va_vcc(0)
	v_add_co_ci_u32_e64 v28, null, s19, v28, vcc_lo
	v_add_co_u32 v29, vcc_lo, v29, s18
	;; [unrolled: 3-line block ×3, first 2 shown]
	v_dual_mov_b32 v215, v196 :: v_dual_mov_b32 v212, v193
	s_wait_alu depctr_va_vcc(0)
	v_add_co_ci_u32_e64 v25, null, s19, v25, vcc_lo
	v_add_co_u32 v26, vcc_lo, v26, s18
	v_mov_b32_e32 v79, v205
	s_wait_alu depctr_va_vcc(0)
	v_add_co_ci_u32_e64 v27, null, s19, v27, vcc_lo
	v_add_co_u32 v66, vcc_lo, v66, s18
	v_mov_b32_e32 v80, v206
	v_mov_b32_e32 v214, v195
	s_wait_alu depctr_va_vcc(0)
	v_add_co_ci_u32_e64 v72, null, s19, v72, vcc_lo
	v_add_co_u32 v73, vcc_lo, v73, s18
	s_wait_alu depctr_va_vcc(0)
	v_add_co_ci_u32_e64 v74, null, s19, v74, vcc_lo
	v_add_co_u32 v79, vcc_lo, v79, s18
	;; [unrolled: 3-line block ×11, first 2 shown]
	s_wait_alu depctr_va_vcc(0)
	v_add_co_ci_u32_e64 v2, null, s19, v2, vcc_lo
	v_mov_b32_e32 v108, v56
	v_dual_mov_b32 v56, v192 :: v_dual_mov_b32 v213, v194
	scratch_store_b32 off, v120, off offset:96 ; 4-byte Folded Spill
	s_wait_loadcnt 0xb
	v_add_co_u32 v69, vcc_lo, v69, s18
	s_wait_loadcnt 0xa
	s_wait_alu depctr_va_vcc(0)
	v_add_co_ci_u32_e64 v70, null, s19, v70, vcc_lo
	.loc	1 48 21                         ; attention_bwd.py:48:21 @[ attention_bwd.py:200:26 ]
	s_wait_loadcnt 0x5
	ds_store_b16 v184, v3
	scratch_load_b32 v3, off, off offset:304 th:TH_LOAD_LU ; 4-byte Folded Reload
	s_wait_loadcnt 0x0
	ds_store_b16 v184, v3 offset:512
	scratch_load_b32 v3, off, off offset:320 th:TH_LOAD_LU ; 4-byte Folded Reload
	s_wait_loadcnt 0x0
	ds_store_b16 v184, v3 offset:1024
	scratch_load_b32 v3, off, off offset:336 th:TH_LOAD_LU ; 4-byte Folded Reload
	s_wait_loadcnt 0x0
	ds_store_b16 v184, v3 offset:1536
	scratch_load_b32 v3, off, off offset:352 th:TH_LOAD_LU ; 4-byte Folded Reload
	s_wait_loadcnt 0x0
	ds_store_b16 v184, v3 offset:2048
	scratch_load_b32 v3, off, off offset:368 th:TH_LOAD_LU ; 4-byte Folded Reload
	s_wait_loadcnt 0x0
	ds_store_b16 v184, v3 offset:2560
	scratch_load_b32 v3, off, off offset:384 th:TH_LOAD_LU ; 4-byte Folded Reload
	s_wait_loadcnt 0x0
	ds_store_b16 v184, v3 offset:3072
	scratch_load_b32 v3, off, off offset:400 th:TH_LOAD_LU ; 4-byte Folded Reload
	s_wait_loadcnt 0x0
	ds_store_b16 v184, v3 offset:3584
	scratch_load_b32 v3, off, off offset:416 th:TH_LOAD_LU ; 4-byte Folded Reload
	s_wait_loadcnt 0x0
	ds_store_b16 v184, v3 offset:4096
	scratch_load_b32 v3, off, off offset:432 th:TH_LOAD_LU ; 4-byte Folded Reload
	s_wait_loadcnt 0x0
	ds_store_b16 v184, v3 offset:4608
	scratch_load_b32 v3, off, off offset:448 th:TH_LOAD_LU ; 4-byte Folded Reload
	s_wait_loadcnt 0x0
	ds_store_b16 v184, v3 offset:5120
	scratch_load_b32 v3, off, off offset:464 th:TH_LOAD_LU ; 4-byte Folded Reload
	s_wait_loadcnt 0x0
	ds_store_b16 v184, v3 offset:5632
	scratch_load_b32 v3, off, off offset:480 th:TH_LOAD_LU ; 4-byte Folded Reload
	s_wait_loadcnt 0x0
	ds_store_b16 v184, v3 offset:6144
	scratch_load_b32 v3, off, off offset:488 th:TH_LOAD_LU ; 4-byte Folded Reload
	s_wait_loadcnt 0x0
	ds_store_b16 v184, v3 offset:6656
	scratch_load_b32 v3, off, off offset:496 th:TH_LOAD_LU ; 4-byte Folded Reload
	s_wait_loadcnt 0x0
	ds_store_b16 v184, v3 offset:7168
	scratch_load_b32 v3, off, off offset:504 th:TH_LOAD_LU ; 4-byte Folded Reload
	s_wait_loadcnt 0x0
	ds_store_b16 v184, v3 offset:7680
	.loc	1 58 21                         ; attention_bwd.py:58:21 @[ attention_bwd.py:200:26 ]
	scratch_load_b32 v3, off, off offset:632 th:TH_LOAD_LU ; 4-byte Folded Reload
	s_wait_loadcnt 0x0
	ds_store_b16 v184, v3 offset:8192
	scratch_load_b32 v3, off, off offset:640 th:TH_LOAD_LU ; 4-byte Folded Reload
	s_wait_loadcnt 0x0
	ds_store_b16 v184, v3 offset:8704
	;; [unrolled: 3-line block ×8, first 2 shown]
	ds_store_b16 v184, v224 offset:12288
	ds_store_b16 v184, v219 offset:12800
	s_clause 0x3                            ; 28-byte Folded Reload
	scratch_load_b32 v82, off, off offset:192 th:TH_LOAD_LU
	scratch_load_b32 v3, off, off offset:696 th:TH_LOAD_LU
	scratch_load_b128 v[216:219], off, off offset:712
	scratch_load_b32 v88, off, off offset:184 th:TH_LOAD_LU
	s_wait_loadcnt 0x2
	ds_store_b16 v184, v3 offset:13312
	s_clause 0x2                            ; 12-byte Folded Reload
	scratch_load_b32 v83, off, off offset:188 th:TH_LOAD_LU
	scratch_load_b32 v3, off, off offset:128 th:TH_LOAD_LU
	;; [unrolled: 1-line block ×3, first 2 shown]
	.loc	1 47 25                         ; attention_bwd.py:47:25 @[ attention_bwd.py:200:26 ]
	s_wait_loadcnt 0x1
	v_add_co_u32 v3, vcc_lo, v3, s18
	s_wait_alu depctr_va_vcc(0)
	v_add_co_ci_u32_e64 v83, null, s19, v83, vcc_lo
	v_add_co_u32 v84, vcc_lo, v84, s18
	s_wait_alu depctr_va_vcc(0)
	v_add_co_ci_u32_e64 v85, null, s19, v85, vcc_lo
	;; [unrolled: 3-line block ×15, first 2 shown]
	.loc	1 58 21                         ; attention_bwd.py:58:21 @[ attention_bwd.py:200:26 ]
	s_wait_loadcnt 0x0
	ds_store_b16 v184, v62 offset:13824
	.loc	1 47 25                         ; attention_bwd.py:47:25 @[ attention_bwd.py:200:26 ]
	s_cbranch_scc1 .LBB0_68
; %bb.69:                               ; %Flow1416
	.loc	1 0 25 is_stmt 0                ; attention_bwd.py:0:25
	s_clause 0xc                            ; 60-byte Folded Reload
	scratch_load_b32 v128, off, off offset:904
	scratch_load_b32 v106, off, off offset:908
	scratch_load_b32 v107, off, off offset:912
	scratch_load_b32 v111, off, off offset:864
	scratch_load_b32 v143, off, off offset:916
	scratch_load_b64 v[205:206], off, off offset:920
	scratch_load_b64 v[162:163], off, off offset:928
	scratch_load_b32 v180, off, off offset:936
	scratch_load_b32 v181, off, off offset:940
	;; [unrolled: 1-line block ×6, first 2 shown]
	v_dual_mov_b32 v98, v216 :: v_dual_mov_b32 v99, v217
	v_dual_mov_b32 v114, v220 :: v_dual_mov_b32 v115, v221
	;; [unrolled: 1-line block ×4, first 2 shown]
	s_clause 0x8                            ; 108-byte Folded Reload
	scratch_load_b32 v65, off, off offset:964
	scratch_load_b32 v67, off, off offset:968
	scratch_load_b128 v[216:219], off, off
	scratch_load_b128 v[220:223], off, off offset:16
	scratch_load_b128 v[56:59], off, off offset:32
	;; [unrolled: 1-line block ×5, first 2 shown]
	scratch_load_b32 v0, off, off offset:960
	v_dual_mov_b32 v31, v19 :: v_dual_mov_b32 v30, v18
	v_dual_mov_b32 v142, v39 :: v_dual_mov_b32 v141, v38
	;; [unrolled: 1-line block ×5, first 2 shown]
	s_clause 0x1                            ; 32-byte Folded Spill
	scratch_store_b128 off, v[4:7], off offset:96
	scratch_store_b128 off, v[8:11], off offset:112
	v_dual_mov_b32 v64, s100 :: v_dual_mov_b32 v109, s17
	v_dual_mov_b32 v140, v37 :: v_dual_mov_b32 v139, v36
	;; [unrolled: 1-line block ×4, first 2 shown]
	s_branch .LBB0_71
.LBB0_70:
	v_dual_mov_b32 v48, v199 :: v_dual_mov_b32 v7, v199
	v_dual_mov_b32 v6, v199 :: v_dual_mov_b32 v5, v199
	;; [unrolled: 1-line block ×4, first 2 shown]
	v_mov_b32_e32 v0, v199
	v_dual_mov_b32 v20, v68 :: v_dual_mov_b32 v21, v69
	s_clause 0x1                            ; 32-byte Folded Spill
	scratch_store_b128 off, v[0:3], off offset:96
	scratch_store_b128 off, v[4:7], off offset:112
	v_dual_mov_b32 v198, v199 :: v_dual_mov_b32 v197, v199
	v_dual_mov_b32 v196, v199 :: v_dual_mov_b32 v195, v199
	;; [unrolled: 1-line block ×28, first 2 shown]
	v_mov_b32_e32 v0, v66
.LBB0_71:                               ; %Flow1418
	s_clause 0x2
	s_load_b32 s4, s[0:1], 0x18
	s_load_b128 s[8:11], s[0:1], 0x28
	s_load_b64 s[0:1], s[0:1], 0x38
	.loc	1 69 26 is_stmt 1               ; attention_bwd.py:69:26 @[ attention_bwd.py:200:26 ]
	s_wait_storecnt 0x0
	s_wait_loadcnt_dscnt 0x0
	s_barrier_signal -1
	v_add3_u32 v65, 0, v64, v65
	.loc	1 48 21                         ; attention_bwd.py:48:21 @[ attention_bwd.py:200:26 ]
	v_or_b32_e32 v66, v67, v0
	v_dual_mov_b32 v2, v107 :: v_dual_mov_b32 v1, v106
	v_mov_b32_e32 v64, 0
	s_delay_alu instid0(VALU_DEP_4) | instskip(NEXT) | instid1(VALU_DEP_4)
	v_dual_mov_b32 v65, 0 :: v_dual_add_nc_u32 v204, v65, v104
	v_dual_mov_b32 v66, 0 :: v_dual_add_nc_u32 v187, 0, v66
	v_dual_mov_b32 v67, 0 :: v_dual_mov_b32 v68, 0
	v_dual_mov_b32 v69, 0 :: v_dual_mov_b32 v70, 0
	;; [unrolled: 1-line block ×7, first 2 shown]
	.loc	1 52 24                         ; attention_bwd.py:52:24 @[ attention_bwd.py:200:26 ]
	s_and_b32 vcc_lo, exec_lo, s2
	.loc	1 69 26                         ; attention_bwd.py:69:26 @[ attention_bwd.py:200:26 ]
	s_barrier_wait -1
	global_inv scope:SCOPE_SE
	s_wait_alu depctr_sa_sdst(0)
	s_cbranch_vccnz .LBB0_73
; %bb.72:
	.loc	1 48 21                         ; attention_bwd.py:48:21 @[ attention_bwd.py:200:26 ]
	ds_load_u16 v76, v187 offset:384
	ds_load_u16 v74, v187 offset:128
	ds_load_u16 v73, v187
	ds_load_u16 v77, v187 offset:1024
	ds_load_u16 v79, v187 offset:1280
	;; [unrolled: 1-line block ×7, first 2 shown]
	s_wait_dscnt 0x2
	ds_load_u16_d16_hi v81, v187 offset:1120
	ds_load_u16 v75, v187 offset:256
	ds_load_u16 v85, v187 offset:3072
	;; [unrolled: 1-line block ×4, first 2 shown]
	ds_load_u16_d16_hi v78, v187 offset:1216
	ds_load_u16 v89, v187 offset:32
	ds_load_u16 v92, v187 offset:416
	ds_load_u16_d16_hi v74, v187 offset:192
	ds_load_u16_d16_hi v73, v187 offset:64
	ds_load_u16 v91, v187 offset:288
	ds_load_u16 v90, v187 offset:160
	ds_load_u16_d16_hi v76, v187 offset:448
	ds_load_u16_d16_hi v77, v187 offset:1088
	ds_load_u16 v82, v187 offset:1184
	s_wait_dscnt 0xd
	ds_load_u16_d16_hi v75, v187 offset:320
	s_wait_dscnt 0xc
	ds_load_u16_d16_hi v88, v187 offset:2400
	ds_load_u16 v93, v187 offset:2048
	ds_load_u16 v94, v187 offset:2176
	ds_load_u16_d16_hi v79, v187 offset:1344
	ds_load_u16_d16_hi v80, v187 offset:1472
	ds_load_u16 v83, v187 offset:1312
	ds_load_u16 v86, v187 offset:2080
	;; [unrolled: 1-line block ×3, first 2 shown]
	s_wait_dscnt 0x11
	ds_load_u16_d16_hi v89, v187 offset:96
	s_wait_dscnt 0x11
	ds_load_u16_d16_hi v92, v187 offset:480
	;; [unrolled: 2-line block ×4, first 2 shown]
	ds_load_u16_d16_hi v95, v187 offset:2368
	s_wait_dscnt 0xa
	ds_load_u16_d16_hi v94, v187 offset:2240
	ds_load_u16_d16_hi v96, v187 offset:2496
	.loc	1 52 24                         ; attention_bwd.py:52:24 @[ attention_bwd.py:200:26 ]
	v_wmma_f32_16x16x16_f16 v[65:72], v[73:76], v[248:251], 0
	.loc	1 48 21                         ; attention_bwd.py:48:21 @[ attention_bwd.py:200:26 ]
	ds_load_u16_d16_hi v82, v187 offset:1248
	s_wait_dscnt 0xa
	ds_load_u16_d16_hi v83, v187 offset:1376
	s_wait_dscnt 0x9
	ds_load_u16_d16_hi v84, v187 offset:1504
	.loc	1 52 24                         ; attention_bwd.py:52:24 @[ attention_bwd.py:200:26 ]
	v_wmma_f32_16x16x16_f16 v[65:72], v[77:80], v[188:191], v[65:72]
	s_wait_dscnt 0x6
	v_wmma_f32_16x16x16_f16 v[73:80], v[89:92], v[248:251], 0
	.loc	1 48 21                         ; attention_bwd.py:48:21 @[ attention_bwd.py:200:26 ]
	ds_load_u16 v89, v187 offset:2464
	ds_load_u16_d16_hi v93, v187 offset:2112
	ds_load_u16_d16_hi v87, v187 offset:2272
	;; [unrolled: 1-line block ×3, first 2 shown]
	.loc	1 52 24                         ; attention_bwd.py:52:24 @[ attention_bwd.py:200:26 ]
	s_wait_dscnt 0x4
	v_wmma_f32_16x16x16_f16 v[73:80], v[81:84], v[188:191], v[73:80]
	.loc	1 48 21                         ; attention_bwd.py:48:21 @[ attention_bwd.py:200:26 ]
	s_wait_dscnt 0x3
	ds_load_u16_d16_hi v89, v187 offset:2528
	ds_load_u16 v81, v187 offset:3104
	.loc	1 52 24                         ; attention_bwd.py:52:24 @[ attention_bwd.py:200:26 ]
	s_wait_dscnt 0x4
	v_wmma_f32_16x16x16_f16 v[65:72], v[93:96], v[176:179], v[65:72]
	.loc	1 48 21                         ; attention_bwd.py:48:21 @[ attention_bwd.py:200:26 ]
	ds_load_u16 v94, v187 offset:4224
	ds_load_u16 v95, v187 offset:4352
	.loc	1 52 24                         ; attention_bwd.py:52:24 @[ attention_bwd.py:200:26 ]
	s_wait_dscnt 0x3
	v_wmma_f32_16x16x16_f16 v[73:80], v[86:89], v[176:179], v[73:80]
	.loc	1 48 21                         ; attention_bwd.py:48:21 @[ attention_bwd.py:200:26 ]
	ds_load_u16 v86, v187 offset:3200
	ds_load_u16 v88, v187 offset:3456
	ds_load_u16 v89, v187 offset:4128
	s_wait_dscnt 0x0
	ds_load_u16_d16_hi v89, v187 offset:4192
	ds_load_u16 v93, v187 offset:4096
	ds_load_u16 v87, v187 offset:3328
	;; [unrolled: 1-line block ×5, first 2 shown]
	ds_load_u16_d16_hi v85, v187 offset:3136
	ds_load_u16_d16_hi v86, v187 offset:3264
	;; [unrolled: 1-line block ×4, first 2 shown]
	s_wait_dscnt 0x7
	ds_load_u16_d16_hi v87, v187 offset:3392
	s_wait_dscnt 0x7
	ds_load_u16_d16_hi v84, v187 offset:3552
	ds_load_u16_d16_hi v93, v187 offset:4160
	ds_load_u16 v90, v187 offset:4256
	s_wait_dscnt 0x9
	ds_load_u16_d16_hi v83, v187 offset:3424
	s_wait_dscnt 0x9
	ds_load_u16_d16_hi v82, v187 offset:3296
	.loc	1 52 24                         ; attention_bwd.py:52:24 @[ attention_bwd.py:200:26 ]
	s_wait_dscnt 0x5
	v_wmma_f32_16x16x16_f16 v[65:72], v[85:88], v[168:171], v[65:72]
	s_wait_dscnt 0x0
	v_wmma_f32_16x16x16_f16 v[73:80], v[81:84], v[168:171], v[73:80]
	.loc	1 48 21                         ; attention_bwd.py:48:21 @[ attention_bwd.py:200:26 ]
	ds_load_u16_d16_hi v94, v187 offset:4288
	ds_load_u16 v96, v187 offset:4480
	ds_load_u16 v81, v187 offset:6144
	;; [unrolled: 1-line block ×4, first 2 shown]
	s_wait_dscnt 0x1
	ds_load_u16_d16_hi v84, v187 offset:5472
	ds_load_u16 v86, v187 offset:5120
	ds_load_u16 v87, v187 offset:5248
	ds_load_u16_d16_hi v95, v187 offset:4416
	ds_load_u16_d16_hi v96, v187 offset:4544
	ds_load_u16 v91, v187 offset:4384
	ds_load_u16 v82, v187 offset:5152
	ds_load_u16 v92, v187 offset:4512
	ds_load_u16_d16_hi v90, v187 offset:4320
	s_wait_dscnt 0x3
	ds_load_u16_d16_hi v91, v187 offset:4448
	s_wait_dscnt 0x2
	ds_load_u16_d16_hi v92, v187 offset:4576
	ds_load_u16_d16_hi v86, v187 offset:5184
	ds_load_u16 v85, v187 offset:5536
	ds_load_u16_d16_hi v83, v187 offset:5344
	ds_load_u16_d16_hi v82, v187 offset:5216
	.loc	1 52 24                         ; attention_bwd.py:52:24 @[ attention_bwd.py:200:26 ]
	v_wmma_f32_16x16x16_f16 v[65:72], v[93:96], v[152:155], v[65:72]
	s_wait_dscnt 0x4
	v_wmma_f32_16x16x16_f16 v[73:80], v[89:92], v[152:155], v[73:80]
	.loc	1 48 21                         ; attention_bwd.py:48:21 @[ attention_bwd.py:200:26 ]
	ds_load_u16 v88, v187 offset:5376
	ds_load_u16 v89, v187 offset:5504
	s_wait_dscnt 0x1
	ds_load_u16_d16_hi v88, v187 offset:5440
	ds_load_u16_d16_hi v87, v187 offset:5312
	s_wait_dscnt 0x2
	ds_load_u16_d16_hi v89, v187 offset:5568
	ds_load_u16_d16_hi v85, v187 offset:5600
	.loc	1 52 24                         ; attention_bwd.py:52:24 @[ attention_bwd.py:200:26 ]
	s_wait_dscnt 0x1
	v_wmma_f32_16x16x16_f16 v[65:72], v[86:89], v[148:151], v[65:72]
	s_wait_dscnt 0x0
	v_wmma_f32_16x16x16_f16 v[73:80], v[82:85], v[148:151], v[73:80]
	.loc	1 48 21                         ; attention_bwd.py:48:21 @[ attention_bwd.py:200:26 ]
	ds_load_u16 v90, v187 offset:7200
	ds_load_u16 v95, v187 offset:7296
	;; [unrolled: 1-line block ×6, first 2 shown]
	s_wait_dscnt 0x5
	ds_load_u16_d16_hi v90, v187 offset:7264
	ds_load_u16 v83, v187 offset:6400
	ds_load_u16 v89, v187 offset:6560
	;; [unrolled: 1-line block ×9, first 2 shown]
	ds_load_u16_d16_hi v81, v187 offset:6208
	s_wait_dscnt 0xe
	ds_load_u16_d16_hi v82, v187 offset:6336
	s_wait_dscnt 0xc
	ds_load_u16_d16_hi v86, v187 offset:6240
	ds_load_u16_d16_hi v84, v187 offset:6592
	s_wait_dscnt 0xc
	ds_load_u16_d16_hi v83, v187 offset:6464
	s_wait_dscnt 0xc
	ds_load_u16_d16_hi v89, v187 offset:6624
	ds_load_u16_d16_hi v95, v187 offset:7360
	;; [unrolled: 1-line block ×3, first 2 shown]
	s_wait_dscnt 0xe
	ds_load_u16_d16_hi v88, v187 offset:6496
	s_wait_dscnt 0xe
	ds_load_u16_d16_hi v87, v187 offset:6368
	;; [unrolled: 2-line block ×7, first 2 shown]
	.loc	1 52 24                         ; attention_bwd.py:52:24 @[ attention_bwd.py:200:26 ]
	s_wait_dscnt 0xa
	v_wmma_f32_16x16x16_f16 v[65:72], v[81:84], v[164:167], v[65:72]
	s_wait_dscnt 0x5
	v_wmma_f32_16x16x16_f16 v[73:80], v[86:89], v[164:167], v[73:80]
	s_wait_dscnt 0x2
	s_delay_alu instid0(VALU_DEP_2) | instskip(SKIP_1) | instid1(VALU_DEP_2)
	v_wmma_f32_16x16x16_f16 v[65:72], v[94:97], v[144:147], v[65:72]
	s_wait_dscnt 0x0
	v_wmma_f32_16x16x16_f16 v[73:80], v[90:93], v[144:147], v[73:80]
.LBB0_73:
	.loc	1 0 24 is_stmt 0                ; attention_bwd.py:0:24
	v_dual_mov_b32 v96, v40 :: v_dual_lshlrev_b32 v81, 5, v109
	v_dual_mov_b32 v97, v41 :: v_dual_lshlrev_b32 v82, 7, v104
	s_delay_alu instid0(VALU_DEP_3) | instskip(NEXT) | instid1(VALU_DEP_3)
	.loc	1 53 32 is_stmt 1               ; attention_bwd.py:53:32 @[ attention_bwd.py:200:26 ]
	v_dual_sub_f32 v73, v73, v98 :: v_dual_sub_f32 v74, v74, v99
	v_dual_mov_b32 v98, v42 :: v_dual_add_nc_u32 v81, 0, v81
	.loc	1 61 21                         ; attention_bwd.py:61:21 @[ attention_bwd.py:200:26 ]
	v_lshlrev_b32_e32 v83, 6, v104
	.loc	1 53 32                         ; attention_bwd.py:53:32 @[ attention_bwd.py:200:26 ]
	v_dual_sub_f32 v75, v75, v100 :: v_dual_sub_f32 v76, v76, v101
	s_delay_alu instid0(VALU_DEP_3) | instskip(SKIP_1) | instid1(VALU_DEP_4)
	.loc	1 58 21                         ; attention_bwd.py:58:21 @[ attention_bwd.py:200:26 ]
	v_add3_u32 v81, v81, v82, v0
	v_mov_b32_e32 v100, v44
	.loc	1 61 21                         ; attention_bwd.py:61:21 @[ attention_bwd.py:200:26 ]
	v_add3_u32 v120, 0, v83, v0
	.loc	1 53 32                         ; attention_bwd.py:53:32 @[ attention_bwd.py:200:26 ]
	v_dual_sub_f32 v71, v71, v116 :: v_dual_sub_f32 v72, v72, v117
	.loc	1 58 21                         ; attention_bwd.py:58:21 @[ attention_bwd.py:200:26 ]
	ds_load_u16 v167, v81 offset:8192
	ds_load_u16 v168, v81 offset:8448
	ds_load_u16 v186, v81 offset:8256
	ds_load_u16 v0, v81 offset:8512
	.loc	1 66 24                         ; attention_bwd.py:66:24 @[ attention_bwd.py:200:26 ]
	v_add3_u32 v82, 0, v104, v105
	.loc	1 53 32                         ; attention_bwd.py:53:32 @[ attention_bwd.py:200:26 ]
	v_dual_sub_f32 v77, v77, v232 :: v_dual_sub_f32 v78, v78, v233
	v_dual_sub_f32 v79, v79, v234 :: v_dual_sub_f32 v80, v80, v235
	;; [unrolled: 1-line block ×5, first 2 shown]
	s_delay_alu instid0(VALU_DEP_3) | instskip(NEXT) | instid1(VALU_DEP_3)
	.loc	1 53 26 is_stmt 0               ; attention_bwd.py:53:26 @[ attention_bwd.py:200:26 ]
	v_exp_f32_e32 v178, v65
	v_exp_f32_e32 v179, v66
	s_delay_alu instid0(VALU_DEP_2)
	v_exp_f32_e32 v129, v67
	v_exp_f32_e32 v130, v68
	v_dual_mov_b32 v102, v46 :: v_dual_add_nc_u32 v207, s104, v120
	v_exp_f32_e32 v185, v69
	v_exp_f32_e32 v188, v70
	.loc	1 58 21 is_stmt 1               ; attention_bwd.py:58:21 @[ attention_bwd.py:200:26 ]
	s_wait_dscnt 0x0
	scratch_store_b32 off, v0, off offset:176 ; 4-byte Folded Spill
	ds_load_u16 v0, v81 offset:8320
	ds_load_u16 v127, v81 offset:8576
	;; [unrolled: 1-line block ×7, first 2 shown]
	.loc	1 61 21                         ; attention_bwd.py:61:21 @[ attention_bwd.py:200:26 ]
	v_cvt_f16_f32_e64 v65, v178
	v_cvt_f16_f32_e64 v66, v179
	.loc	1 53 26                         ; attention_bwd.py:53:26 @[ attention_bwd.py:200:26 ]
	v_exp_f32_e32 v189, v71
	v_exp_f32_e32 v190, v72
	;; [unrolled: 1-line block ×10, first 2 shown]
	.loc	1 61 21                         ; attention_bwd.py:61:21 @[ attention_bwd.py:200:26 ]
	s_lshr_b32 s5, s3, 1
	v_dual_mov_b32 v99, v43 :: v_dual_mov_b32 v88, v216
	v_dual_mov_b32 v101, v45 :: v_dual_mov_b32 v90, v218
	;; [unrolled: 1-line block ×3, first 2 shown]
	.loc	1 58 21                         ; attention_bwd.py:58:21 @[ attention_bwd.py:200:26 ]
	s_wait_dscnt 0x0
	scratch_store_b32 off, v3, off offset:220 ; 4-byte Folded Spill
	ds_load_u16 v3, v81 offset:9024
	v_dual_mov_b32 v89, v217 :: v_dual_mov_b32 v94, v222
	v_dual_mov_b32 v91, v219 :: v_dual_mov_b32 v80, v56
	v_mov_b32_e32 v93, v221
	v_mov_b32_e32 v95, v223
	v_dual_mov_b32 v85, v61 :: v_dual_mov_b32 v74, v194
	v_dual_mov_b32 v87, v63 :: v_dual_mov_b32 v76, v196
	;; [unrolled: 1-line block ×3, first 2 shown]
	v_mov_b32_e32 v75, v195
	v_dual_mov_b32 v77, v197 :: v_dual_mov_b32 v68, 0
	v_dual_mov_b32 v79, v199 :: v_dual_mov_b32 v70, 0
	;; [unrolled: 1-line block ×3, first 2 shown]
	s_wait_dscnt 0x0
	scratch_store_b32 off, v3, off offset:240 ; 4-byte Folded Spill
	ds_load_u16 v3, v81 offset:8832
	v_dual_mov_b32 v69, 0 :: v_dual_mov_b32 v108, 0
	v_dual_mov_b32 v71, 0 :: v_dual_mov_b32 v110, 0
	v_mov_b32_e32 v105, 0
	v_mov_b32_e32 v107, 0
	v_mov_b32_e32 v109, 0
	v_mov_b32_e32 v111, 0
	s_wait_alu depctr_sa_sdst(0)
	v_add_nc_u32_e32 v161, s5, v120
	.loc	1 66 24                         ; attention_bwd.py:66:24 @[ attention_bwd.py:200:26 ]
	s_and_b32 vcc_lo, exec_lo, s2
	v_mov_b32_e32 v86, v62
	v_mov_b32_e32 v72, v192
	;; [unrolled: 1-line block ×3, first 2 shown]
	.loc	1 58 21                         ; attention_bwd.py:58:21 @[ attention_bwd.py:200:26 ]
	s_wait_dscnt 0x0
	scratch_store_b32 off, v3, off offset:200 ; 4-byte Folded Spill
	ds_load_u16 v3, v81 offset:9088
	s_wait_dscnt 0x0
	scratch_store_b32 off, v3, off offset:208 ; 4-byte Folded Spill
	ds_load_u16 v3, v81 offset:9152
	;; [unrolled: 3-line block ×4, first 2 shown]
	ds_load_u16 v117, v81 offset:9472
	ds_load_u16 v3, v81 offset:9280
	s_wait_dscnt 0x0
	scratch_store_b32 off, v3, off offset:432 ; 4-byte Folded Spill
	ds_load_u16 v3, v81 offset:9536
	s_wait_dscnt 0x0
	scratch_store_b32 off, v3, off offset:464 ; 4-byte Folded Spill
	;; [unrolled: 3-line block ×6, first 2 shown]
	ds_load_u16 v125, v81 offset:9728
	ds_load_u16 v126, v81 offset:9984
	;; [unrolled: 1-line block ×3, first 2 shown]
	s_wait_dscnt 0x0
	scratch_store_b32 off, v3, off offset:568 ; 4-byte Folded Spill
	ds_load_u16 v3, v81 offset:10048
	s_wait_dscnt 0x0
	scratch_store_b32 off, v3, off offset:584 ; 4-byte Folded Spill
	ds_load_u16 v3, v81 offset:9856
	;; [unrolled: 3-line block ×10, first 2 shown]
	ds_load_u16 v177, v81 offset:12672
	ds_load_u16 v155, v81 offset:12736
	;; [unrolled: 1-line block ×4, first 2 shown]
	s_wait_dscnt 0x0
	scratch_store_b32 off, v3, off offset:448 ; 4-byte Folded Spill
	ds_load_u16 v3, v81 offset:13056
	s_wait_dscnt 0x0
	scratch_store_b32 off, v3, off offset:496 ; 4-byte Folded Spill
	ds_load_u16 v3, v81 offset:12864
	;; [unrolled: 3-line block ×9, first 2 shown]
	ds_load_u16 v3, v81 offset:13376
	s_wait_dscnt 0x0
	scratch_store_b32 off, v3, off offset:480 ; 4-byte Folded Spill
	ds_load_u16 v3, v81 offset:13632
	s_wait_dscnt 0x0
	scratch_store_b32 off, v3, off offset:504 ; 4-byte Folded Spill
	;; [unrolled: 3-line block ×6, first 2 shown]
	ds_load_u16 v149, v81 offset:13824
	ds_load_u16 v166, v81 offset:14080
	ds_load_u16 v148, v81 offset:13888
	ds_load_u16 v119, v81 offset:14144
	ds_load_u16 v3, v81 offset:13952
	s_wait_dscnt 0x0
	scratch_store_b32 off, v3, off offset:552 ; 4-byte Folded Spill
	ds_load_u16 v3, v81 offset:14208
	s_wait_dscnt 0x0
	scratch_store_b32 off, v3, off offset:560 ; 4-byte Folded Spill
	ds_load_u16 v3, v81 offset:14272
	s_wait_dscnt 0x0
	scratch_store_b32 off, v3, off offset:520 ; 4-byte Folded Spill
	ds_load_u16 v3, v81 offset:14016
	.loc	1 61 21                         ; attention_bwd.py:61:21 @[ attention_bwd.py:200:26 ]
	s_wait_dscnt 0x0
	scratch_store_b32 off, v3, off offset:536 ; 4-byte Folded Spill
	.loc	1 66 24                         ; attention_bwd.py:66:24 @[ attention_bwd.py:200:26 ]
	ds_load_b128 v[144:147], v82 offset:8192
	ds_load_b128 v[236:239], v82 offset:8224
	;; [unrolled: 1-line block ×16, first 2 shown]
	.loc	1 0 0 is_stmt 0                 ; attention_bwd.py:0 @[ attention_bwd.py:200:26 ]
	ds_load_b128 v[81:84], v204
	s_wait_dscnt 0x0
	scratch_store_b128 off, v[81:84], off offset:64 ; 16-byte Folded Spill
	ds_load_b128 v[212:215], v204 offset:32
	ds_load_b128 v[81:84], v204 offset:2048
	s_wait_dscnt 0x0
	scratch_store_b128 off, v[81:84], off offset:128 ; 16-byte Folded Spill
	ds_load_b128 v[224:227], v204 offset:2080
	ds_load_b128 v[81:84], v204 offset:4096
	s_wait_dscnt 0x0
	scratch_store_b128 off, v[81:84], off offset:144 ; 16-byte Folded Spill
	ds_load_b128 v[81:84], v204 offset:4128
	s_wait_dscnt 0x0
	scratch_store_b128 off, v[81:84], off   ; 16-byte Folded Spill
	ds_load_b128 v[81:84], v204 offset:6144
	s_wait_dscnt 0x0
	scratch_store_b128 off, v[81:84], off offset:160 ; 16-byte Folded Spill
	ds_load_b128 v[81:84], v204 offset:6176
	.loc	1 61 21 is_stmt 1               ; attention_bwd.py:61:21 @[ attention_bwd.py:200:26 ]
	ds_store_b16 v207, v65 offset:16384
	v_cvt_f16_f32_e64 v65, v129
	ds_store_b16 v207, v66 offset:16512
	v_cvt_f16_f32_e64 v66, v130
	;; [unrolled: 2-line block ×6, first 2 shown]
	ds_store_b16 v207, v65 offset:17152
	ds_store_b16 v207, v66 offset:17280
	v_cvt_f16_f32_e64 v65, v191
	v_cvt_f16_f32_e64 v66, v164
	s_wait_dscnt 0x8
	scratch_store_b128 off, v[81:84], off offset:32 ; 16-byte Folded Spill
	v_dual_mov_b32 v81, v57 :: v_dual_mov_b32 v82, v58
	ds_store_b16 v207, v65 offset:18432
	v_cvt_f16_f32_e64 v65, v165
	ds_store_b16 v207, v66 offset:18560
	v_cvt_f16_f32_e32 v66, v112
	v_dual_mov_b32 v83, v59 :: v_dual_mov_b32 v84, v60
	ds_store_b16 v207, v65 offset:18688
	v_cvt_f16_f32_e32 v65, v113
	ds_store_b16 v207, v66 offset:18816
	v_cvt_f16_f32_e32 v66, v114
	;; [unrolled: 2-line block ×4, first 2 shown]
	ds_store_b16 v207, v65 offset:19200
	ds_store_b16 v207, v66 offset:19328
	v_dual_mov_b32 v65, 0 :: v_dual_mov_b32 v66, 0
	s_wait_storecnt 0x0
	s_wait_loadcnt_dscnt 0x0
	s_barrier_signal -1
	s_barrier_wait -1
	global_inv scope:SCOPE_SE
	s_wait_alu depctr_sa_sdst(0)
	s_cbranch_vccnz .LBB0_75
; %bb.74:
	.loc	1 0 21 is_stmt 0                ; attention_bwd.py:0:21
	s_clause 0x1                            ; 32-byte Folded Reload
	scratch_load_b128 v[76:79], off, off offset:824 th:TH_LOAD_LU
	scratch_load_b128 v[72:75], off, off offset:808 th:TH_LOAD_LU
	.loc	1 62 26 is_stmt 1               ; attention_bwd.py:62:26 @[ attention_bwd.py:200:26 ]
	v_dual_mov_b32 v103, v47 :: v_dual_mov_b32 v102, v46
	v_dual_mov_b32 v101, v45 :: v_dual_mov_b32 v100, v44
	;; [unrolled: 1-line block ×12, first 2 shown]
	.loc	1 66 24                         ; attention_bwd.py:66:24 @[ attention_bwd.py:200:26 ]
	s_wait_loadcnt 0x1
	v_wmma_f32_16x16x16_f16 v[64:71], v[144:147], v[76:79], 0
	v_wmma_f32_16x16x16_f16 v[104:111], v[248:251], v[76:79], 0
	v_dual_mov_b32 v147, v124 :: v_dual_mov_b32 v146, v123
	s_wait_loadcnt 0x0
	s_delay_alu instid0(VALU_DEP_3) | instskip(NEXT) | instid1(VALU_DEP_3)
	v_wmma_f32_16x16x16_f16 v[64:71], v[236:239], v[72:75], v[64:71]
	v_wmma_f32_16x16x16_f16 v[104:111], v[244:247], v[72:75], v[104:111]
	scratch_load_b128 v[72:75], off, off offset:792 th:TH_LOAD_LU ; 16-byte Folded Reload
	v_dual_mov_b32 v145, v122 :: v_dual_mov_b32 v144, v121
	.loc	1 61 21                         ; attention_bwd.py:61:21 @[ attention_bwd.py:200:26 ]
	ds_load_u16 v123, v161 offset:17152
	ds_load_u16 v124, v161 offset:18432
	;; [unrolled: 1-line block ×5, first 2 shown]
	s_wait_dscnt 0x4
	ds_load_u16_d16_hi v123, v161 offset:17280
	s_wait_dscnt 0x4
	ds_load_u16_d16_hi v124, v161 offset:18560
	;; [unrolled: 2-line block ×5, first 2 shown]
	.loc	1 66 24                         ; attention_bwd.py:66:24 @[ attention_bwd.py:200:26 ]
	s_wait_loadcnt 0x0
	v_wmma_f32_16x16x16_f16 v[64:71], v[228:231], v[72:75], v[64:71]
	v_wmma_f32_16x16x16_f16 v[104:111], v[240:243], v[72:75], v[104:111]
	scratch_load_b128 v[72:75], off, off offset:776 th:TH_LOAD_LU ; 16-byte Folded Reload
	s_wait_loadcnt 0x0
	v_wmma_f32_16x16x16_f16 v[64:71], v[32:35], v[72:75], v[64:71]
	v_wmma_f32_16x16x16_f16 v[104:111], v[232:235], v[72:75], v[104:111]
	scratch_load_b128 v[72:75], off, off offset:760 th:TH_LOAD_LU ; 16-byte Folded Reload
	s_wait_loadcnt 0x0
	v_wmma_f32_16x16x16_f16 v[64:71], v[11:14], v[72:75], v[64:71]
	v_wmma_f32_16x16x16_f16 v[104:111], v[36:39], v[72:75], v[104:111]
	.loc	1 62 26                         ; attention_bwd.py:62:26 @[ attention_bwd.py:200:26 ]
	s_clause 0x2                            ; 24-byte Folded Reload
	scratch_load_b128 v[72:75], off, off offset:744 th:TH_LOAD_LU
	scratch_load_b32 v11, off, off offset:568 th:TH_LOAD_LU
	scratch_load_b32 v12, off, off offset:584 th:TH_LOAD_LU
	.loc	1 66 24                         ; attention_bwd.py:66:24 @[ attention_bwd.py:200:26 ]
	s_wait_loadcnt 0x2
	v_wmma_f32_16x16x16_f16 v[64:71], v[208:211], v[72:75], v[64:71]
	v_wmma_f32_16x16x16_f16 v[104:111], v[15:18], v[72:75], v[104:111]
	.loc	1 62 26                         ; attention_bwd.py:62:26 @[ attention_bwd.py:200:26 ]
	v_perm_b32 v75, v126, v125, 0x5040100
	v_perm_b32 v74, v117, v171, 0x5040100
	v_perm_b32 v73, v170, v169, 0x5040100
	v_perm_b32 v72, v168, v167, 0x5040100
	v_perm_b32 v125, v19, v154, 0x5040100
	s_wait_dscnt 0x0
	s_delay_alu instid0(VALU_DEP_2)
	v_wmma_f32_16x16x16_f16 v[96:103], v[72:75], v[120:123], v[96:103]
	s_wait_loadcnt 0x0
	v_perm_b32 v75, v12, v11, 0x5040100
	s_clause 0x1                            ; 8-byte Folded Reload
	scratch_load_b32 v11, off, off offset:432 th:TH_LOAD_LU
	scratch_load_b32 v12, off, off offset:464 th:TH_LOAD_LU
	s_wait_loadcnt 0x0
	v_perm_b32 v74, v12, v11, 0x5040100
	s_clause 0x1                            ; 8-byte Folded Reload
	scratch_load_b32 v11, off, off offset:220 th:TH_LOAD_LU
	scratch_load_b32 v12, off, off offset:240 th:TH_LOAD_LU
	s_wait_loadcnt 0x0
	v_perm_b32 v73, v12, v11, 0x5040100
	scratch_load_b32 v11, off, off offset:176 th:TH_LOAD_LU ; 4-byte Folded Reload
	s_wait_loadcnt 0x0
	v_perm_b32 v72, v11, v186, 0x5040100
	s_clause 0x1                            ; 8-byte Folded Reload
	scratch_load_b32 v11, off, off offset:528 th:TH_LOAD_LU
	scratch_load_b32 v12, off, off offset:544 th:TH_LOAD_LU
	v_wmma_f32_16x16x16_f16 v[88:95], v[72:75], v[120:123], v[88:95]
	v_perm_b32 v72, v127, v0, 0x5040100
	v_mov_b32_e32 v0, v128
	s_wait_loadcnt 0x0
	v_perm_b32 v75, v12, v11, 0x5040100
	s_clause 0x1                            ; 8-byte Folded Reload
	scratch_load_b32 v11, off, off offset:352 th:TH_LOAD_LU
	scratch_load_b32 v12, off, off offset:384 th:TH_LOAD_LU
	s_wait_loadcnt 0x0
	v_perm_b32 v74, v12, v11, 0x5040100
	s_clause 0x1                            ; 8-byte Folded Reload
	scratch_load_b32 v11, off, off offset:200 th:TH_LOAD_LU
	scratch_load_b32 v12, off, off offset:208 th:TH_LOAD_LU
	;; [unrolled: 5-line block ×3, first 2 shown]
	v_wmma_f32_16x16x16_f16 v[80:87], v[72:75], v[120:123], v[80:87]
	v_dual_mov_b32 v72, v192 :: v_dual_mov_b32 v75, v195
	v_dual_mov_b32 v73, v193 :: v_dual_mov_b32 v74, v194
	;; [unrolled: 1-line block ×4, first 2 shown]
	s_wait_loadcnt 0x0
	v_perm_b32 v128, v11, v12, 0x5040100
	s_clause 0x1                            ; 8-byte Folded Reload
	scratch_load_b32 v11, off, off offset:272 th:TH_LOAD_LU
	scratch_load_b32 v12, off, off offset:320 th:TH_LOAD_LU
	s_wait_loadcnt 0x0
	v_perm_b32 v127, v11, v12, 0x5040100
	s_clause 0x1                            ; 8-byte Folded Reload
	scratch_load_b32 v11, off, off offset:184 th:TH_LOAD_LU
	scratch_load_b32 v12, off, off offset:192 th:TH_LOAD_LU
	s_wait_loadcnt 0x0
	v_perm_b32 v126, v11, v12, 0x5040100
	s_delay_alu instid0(VALU_DEP_1)
	v_wmma_f32_16x16x16_f16 v[72:79], v[125:128], v[120:123], v[72:79]
	v_mov_b32_e32 v128, v0
	s_clause 0x1                            ; 20-byte Folded Reload
	scratch_load_b128 v[120:123], off, off offset:728 th:TH_LOAD_LU
	scratch_load_b32 v0, off, off offset:576 th:TH_LOAD_LU
	.loc	1 61 21                         ; attention_bwd.py:61:21 @[ attention_bwd.py:200:26 ]
	ds_load_u16 v127, v161 offset:19200
	ds_load_u16 v126, v161 offset:18944
	;; [unrolled: 1-line block ×3, first 2 shown]
	s_wait_dscnt 0x2
	ds_load_u16_d16_hi v127, v161 offset:19328
	s_wait_dscnt 0x2
	ds_load_u16_d16_hi v126, v161 offset:19072
	;; [unrolled: 2-line block ×3, first 2 shown]
	.loc	1 66 24                         ; attention_bwd.py:66:24 @[ attention_bwd.py:200:26 ]
	s_wait_loadcnt 0x1
	v_wmma_f32_16x16x16_f16 v[64:71], v[200:203], v[120:123], v[64:71]
	v_wmma_f32_16x16x16_f16 v[104:111], v[150:153], v[120:123], v[104:111]
	.loc	1 62 26                         ; attention_bwd.py:62:26 @[ attention_bwd.py:200:26 ]
	s_wait_loadcnt 0x0
	v_perm_b32 v122, v118, v0, 0x5040100
	s_clause 0x1                            ; 8-byte Folded Reload
	scratch_load_b32 v0, off, off offset:448 th:TH_LOAD_LU
	scratch_load_b32 v11, off, off offset:496 th:TH_LOAD_LU
	v_perm_b32 v123, v166, v149, 0x5040100
	.loc	1 66 24                         ; attention_bwd.py:66:24 @[ attention_bwd.py:200:26 ]
	v_wmma_f32_16x16x16_f16 v[64:71], v[3:6], v[144:147], v[64:71]
	v_wmma_f32_16x16x16_f16 v[104:111], v[7:10], v[144:147], v[104:111]
	.loc	1 62 26                         ; attention_bwd.py:62:26 @[ attention_bwd.py:200:26 ]
	s_wait_loadcnt 0x0
	v_perm_b32 v121, v11, v0, 0x5040100
	s_clause 0x1                            ; 8-byte Folded Reload
	scratch_load_b32 v0, off, off offset:224 th:TH_LOAD_LU
	scratch_load_b32 v11, off, off offset:288 th:TH_LOAD_LU
	s_wait_loadcnt 0x0
	v_perm_b32 v120, v11, v0, 0x5040100
	s_clause 0x1                            ; 8-byte Folded Reload
	scratch_load_b32 v0, off, off offset:480 th:TH_LOAD_LU
	scratch_load_b32 v11, off, off offset:504 th:TH_LOAD_LU
	s_wait_dscnt 0x0
	v_wmma_f32_16x16x16_f16 v[96:103], v[120:123], v[124:127], v[96:103]
	v_perm_b32 v120, v119, v148, 0x5040100
	s_wait_loadcnt 0x0
	v_perm_b32 v119, v11, v0, 0x5040100
	s_clause 0x1                            ; 8-byte Folded Reload
	scratch_load_b32 v0, off, off offset:256 th:TH_LOAD_LU
	scratch_load_b32 v11, off, off offset:304 th:TH_LOAD_LU
	s_wait_loadcnt 0x0
	v_perm_b32 v118, v11, v0, 0x5040100
	s_clause 0x1                            ; 8-byte Folded Reload
	scratch_load_b32 v0, off, off offset:180 th:TH_LOAD_LU
	scratch_load_b32 v11, off, off offset:188 th:TH_LOAD_LU
	;; [unrolled: 5-line block ×3, first 2 shown]
	v_wmma_f32_16x16x16_f16 v[88:95], v[117:120], v[124:127], v[88:95]
	v_perm_b32 v117, v177, v176, 0x5040100
	s_wait_loadcnt 0x0
	v_perm_b32 v120, v11, v0, 0x5040100
	s_clause 0x1                            ; 8-byte Folded Reload
	scratch_load_b32 v0, off, off offset:400 th:TH_LOAD_LU
	scratch_load_b32 v11, off, off offset:416 th:TH_LOAD_LU
	s_wait_loadcnt 0x0
	v_perm_b32 v119, v11, v0, 0x5040100
	s_clause 0x1                            ; 8-byte Folded Reload
	scratch_load_b32 v0, off, off offset:212 th:TH_LOAD_LU
	scratch_load_b32 v11, off, off offset:216 th:TH_LOAD_LU
	;; [unrolled: 5-line block ×3, first 2 shown]
	v_wmma_f32_16x16x16_f16 v[80:87], v[117:120], v[124:127], v[80:87]
	v_perm_b32 v117, v155, v160, 0x5040100
	s_wait_loadcnt 0x0
	v_perm_b32 v120, v0, v11, 0x5040100
	s_clause 0x1                            ; 8-byte Folded Reload
	scratch_load_b32 v0, off, off offset:336 th:TH_LOAD_LU
	scratch_load_b32 v11, off, off offset:368 th:TH_LOAD_LU
	s_wait_loadcnt 0x0
	v_perm_b32 v119, v0, v11, 0x5040100
	s_clause 0x1                            ; 8-byte Folded Reload
	scratch_load_b32 v0, off, off offset:196 th:TH_LOAD_LU
	scratch_load_b32 v11, off, off offset:204 th:TH_LOAD_LU
	s_wait_loadcnt 0x0
	v_perm_b32 v118, v0, v11, 0x5040100
	s_delay_alu instid0(VALU_DEP_1)
	v_wmma_f32_16x16x16_f16 v[72:79], v[117:120], v[124:127], v[72:79]
.LBB0_75:
	.loc	1 69 26                         ; attention_bwd.py:69:26 @[ attention_bwd.py:200:26 ]
	v_writelane_b32 v253, s48, 27
                                        ; implicit-def: $vgpr255 : SGPR spill to VGPR lane
	.loc	1 68 21                         ; attention_bwd.py:68:21 @[ attention_bwd.py:200:26 ]
	s_wait_loadcnt 0x0
	s_barrier_signal -1
	.loc	1 67 26                         ; attention_bwd.py:67:26 @[ attention_bwd.py:200:26 ]
	v_dual_sub_f32 v64, v64, v156 :: v_dual_sub_f32 v65, v65, v157
	.loc	1 69 26                         ; attention_bwd.py:69:26 @[ attention_bwd.py:200:26 ]
	v_writelane_b32 v253, s49, 28
	.loc	1 67 26                         ; attention_bwd.py:67:26 @[ attention_bwd.py:200:26 ]
	v_dual_sub_f32 v66, v66, v158 :: v_dual_sub_f32 v67, v67, v159
	v_dual_sub_f32 v68, v68, v131 :: v_dual_sub_f32 v69, v69, v132
	.loc	1 69 26                         ; attention_bwd.py:69:26 @[ attention_bwd.py:200:26 ]
	v_writelane_b32 v253, s50, 29
	.loc	1 67 26                         ; attention_bwd.py:67:26 @[ attention_bwd.py:200:26 ]
	v_dual_sub_f32 v70, v70, v133 :: v_dual_sub_f32 v71, v71, v134
	;; [unrolled: 5-line block ×3, first 2 shown]
	v_dual_sub_f32 v108, v108, v20 :: v_dual_sub_f32 v109, v109, v21
	.loc	1 69 26                         ; attention_bwd.py:69:26 @[ attention_bwd.py:200:26 ]
	v_writelane_b32 v253, s44, 31
	v_writelane_b32 v255, s45, 0
	.loc	1 67 26                         ; attention_bwd.py:67:26 @[ attention_bwd.py:200:26 ]
	v_dual_sub_f32 v110, v110, v22 :: v_dual_sub_f32 v111, v111, v23
	.loc	1 68 21                         ; attention_bwd.py:68:21 @[ attention_bwd.py:200:26 ]
	v_fma_mixlo_f16 v64, v178, v64, 0
	v_fma_mixlo_f16 v65, v179, v65, 0
	.loc	1 69 26                         ; attention_bwd.py:69:26 @[ attention_bwd.py:200:26 ]
	v_writelane_b32 v255, s46, 1
	.loc	1 68 21                         ; attention_bwd.py:68:21 @[ attention_bwd.py:200:26 ]
	v_fma_mixlo_f16 v66, v129, v66, 0
	v_fma_mixlo_f16 v67, v130, v67, 0
	v_fma_mixlo_f16 v68, v185, v68, 0
	v_fma_mixlo_f16 v69, v188, v69, 0
	.loc	1 69 26                         ; attention_bwd.py:69:26 @[ attention_bwd.py:200:26 ]
	v_writelane_b32 v255, s47, 2
	.loc	1 68 21                         ; attention_bwd.py:68:21 @[ attention_bwd.py:200:26 ]
	v_fma_mixlo_f16 v70, v189, v70, 0
	v_fma_mixlo_f16 v71, v190, v71, 0
	;; [unrolled: 7-line block ×4, first 2 shown]
	s_barrier_wait -1
	global_inv scope:SCOPE_SE
	.loc	1 69 26                         ; attention_bwd.py:69:26 @[ attention_bwd.py:200:26 ]
	v_writelane_b32 v255, s38, 5
	.loc	1 68 21                         ; attention_bwd.py:68:21 @[ attention_bwd.py:200:26 ]
	ds_store_b16 v207, v64 offset:16384
	ds_store_b16 v207, v65 offset:16512
	;; [unrolled: 1-line block ×16, first 2 shown]
	s_wait_loadcnt_dscnt 0x0
	s_barrier_signal -1
	.loc	1 69 26                         ; attention_bwd.py:69:26 @[ attention_bwd.py:200:26 ]
	s_and_b32 vcc_lo, exec_lo, s2
	v_writelane_b32 v255, s39, 6
	s_mov_b32 s33, s22
	v_writelane_b32 v255, s30, 7
	v_writelane_b32 v255, s31, 8
	.loc	1 68 21                         ; attention_bwd.py:68:21 @[ attention_bwd.py:200:26 ]
	s_barrier_wait -1
	.loc	1 69 26                         ; attention_bwd.py:69:26 @[ attention_bwd.py:200:26 ]
	v_writelane_b32 v255, s36, 9
	.loc	1 68 21                         ; attention_bwd.py:68:21 @[ attention_bwd.py:200:26 ]
	global_inv scope:SCOPE_SE
	.loc	1 69 26                         ; attention_bwd.py:69:26 @[ attention_bwd.py:200:26 ]
	v_writelane_b32 v255, s37, 10
	v_writelane_b32 v255, s28, 11
	v_writelane_b32 v255, s29, 12
	v_writelane_b32 v255, s20, 13
	v_writelane_b32 v255, s21, 14
	v_writelane_b32 v255, s24, 15
	v_writelane_b32 v255, s25, 16
	s_wait_alu depctr_sa_sdst(0)
	s_cbranch_vccnz .LBB0_77
; %bb.76:
	scratch_load_b128 v[3:6], off, off offset:64 th:TH_LOAD_LU ; 16-byte Folded Reload
	.loc	1 68 21                         ; attention_bwd.py:68:21 @[ attention_bwd.py:200:26 ]
	ds_load_u16 v35, v161 offset:17152
	ds_load_u16 v36, v161 offset:18432
	;; [unrolled: 1-line block ×5, first 2 shown]
	v_dual_mov_b32 v8, v48 :: v_dual_mov_b32 v9, v49
	v_dual_mov_b32 v10, v50 :: v_dual_mov_b32 v11, v51
	;; [unrolled: 1-line block ×4, first 2 shown]
	ds_load_u16 v39, v161 offset:19200
	ds_load_u16 v38, v161 offset:18944
	;; [unrolled: 1-line block ×3, first 2 shown]
	v_dual_mov_b32 v129, v1 :: v_dual_mov_b32 v130, v2
	s_wait_dscnt 0x7
	ds_load_u16_d16_hi v35, v161 offset:17280
	s_wait_dscnt 0x7
	ds_load_u16_d16_hi v36, v161 offset:18560
	;; [unrolled: 2-line block ×8, first 2 shown]
	scratch_load_b32 v68, off, off offset:900 ; 4-byte Folded Reload
	.loc	1 69 26                         ; attention_bwd.py:69:26 @[ attention_bwd.py:200:26 ]
	s_wait_loadcnt_dscnt 0x103
	v_wmma_f32_16x16x16_f16 v[24:31], v[3:6], v[32:35], v[24:31]
	s_clause 0x2                            ; 48-byte Folded Reload
	scratch_load_b128 v[16:19], off, off offset:96 th:TH_LOAD_LU
	scratch_load_b128 v[20:23], off, off offset:112 th:TH_LOAD_LU
	;; [unrolled: 1-line block ×3, first 2 shown]
	s_wait_dscnt 0x0
	v_wmma_f32_16x16x16_f16 v[24:31], v[212:215], v[36:39], v[24:31]
	s_wait_loadcnt 0x0
	v_wmma_f32_16x16x16_f16 v[16:23], v[3:6], v[32:35], v[16:23]
	scratch_load_b128 v[3:6], off, off offset:144 th:TH_LOAD_LU ; 16-byte Folded Reload
	v_wmma_f32_16x16x16_f16 v[16:23], v[224:227], v[36:39], v[16:23]
	s_wait_loadcnt 0x0
	v_wmma_f32_16x16x16_f16 v[8:15], v[3:6], v[32:35], v[8:15]
	scratch_load_b128 v[3:6], off, off offset:160 th:TH_LOAD_LU ; 16-byte Folded Reload
	s_wait_loadcnt 0x0
	v_wmma_f32_16x16x16_f16 v[135:142], v[3:6], v[32:35], v[135:142]
	scratch_load_b128 v[3:6], off, off th:TH_LOAD_LU ; 16-byte Folded Reload
	s_wait_loadcnt 0x0
	v_wmma_f32_16x16x16_f16 v[8:15], v[3:6], v[36:39], v[8:15]
	scratch_load_b128 v[3:6], off, off offset:32 th:TH_LOAD_LU ; 16-byte Folded Reload
	s_wait_loadcnt 0x0
	v_wmma_f32_16x16x16_f16 v[135:142], v[3:6], v[36:39], v[135:142]
	s_branch .LBB0_78
.Ltmp25:
.LBB0_77:
	.loc	1 0 26 is_stmt 0                ; attention_bwd.py:0:26
	s_clause 0x2                            ; 36-byte Folded Reload
	scratch_load_b128 v[16:19], off, off offset:96
	scratch_load_b128 v[20:23], off, off offset:112
	scratch_load_b32 v68, off, off offset:900
	v_dual_mov_b32 v8, v48 :: v_dual_mov_b32 v9, v49
	v_dual_mov_b32 v79, v199 :: v_dual_mov_b32 v78, v198
	;; [unrolled: 1-line block ×21, first 2 shown]
.LBB0_78:                               ; %._crit_edge371
	.loc	1 210 22 is_stmt 1              ; attention_bwd.py:210:22
	s_wait_kmcnt 0x0
	v_fma_mixlo_f16 v24, s4, v24, 0
	v_fma_mixlo_f16 v25, s4, v25, 0
	;; [unrolled: 1-line block ×8, first 2 shown]
	s_wait_loadcnt 0x2
	v_fma_mixlo_f16 v16, s4, v16, 0
	v_fma_mixlo_f16 v17, s4, v17, 0
	;; [unrolled: 1-line block ×4, first 2 shown]
	s_wait_loadcnt 0x1
	v_fma_mixlo_f16 v20, s4, v20, 0
	v_fma_mixlo_f16 v21, s4, v21, 0
	;; [unrolled: 1-line block ×20, first 2 shown]
	.loc	1 171 58                        ; attention_bwd.py:171:58
	s_wait_loadcnt 0x0
	v_lshrrev_b32_e32 v0, 1, v68
	v_readlane_b32 s4, v252, 0
	.loc	1 165 36                        ; attention_bwd.py:165:36
	s_lshr_b32 s3, s3, 2
	.loc	1 154 10                        ; attention_bwd.py:154:10
	s_add_nc_u64 s[0:1], s[0:1], s[12:13]
	.loc	1 205 22                        ; attention_bwd.py:205:22
	v_cvt_f16_f32_e32 v32, v96
	.loc	1 171 58                        ; attention_bwd.py:171:58
	v_and_b32_e32 v68, 24, v0
	.loc	1 165 23                        ; attention_bwd.py:165:23
	s_wait_alu depctr_sa_sdst(0)
	v_or3_b32 v0, v143, s3, s4
	.loc	1 205 22                        ; attention_bwd.py:205:22
	v_cvt_f16_f32_e32 v33, v97
	v_cvt_f16_f32_e32 v34, v98
	;; [unrolled: 1-line block ×3, first 2 shown]
	.loc	1 171 69                        ; attention_bwd.py:171:69
	v_mul_lo_u32 v2, s15, v68
	.loc	1 171 38 is_stmt 0              ; attention_bwd.py:171:38
	v_mul_lo_u32 v0, s14, v0
	.loc	1 205 22 is_stmt 1              ; attention_bwd.py:205:22
	v_cvt_f16_f32_e32 v36, v100
	v_cvt_f16_f32_e32 v37, v101
	;; [unrolled: 1-line block ×6, first 2 shown]
	.loc	1 204 50                        ; attention_bwd.py:204:50
	v_ashrrev_i32_e32 v3, 31, v2
	.loc	1 204 19 is_stmt 0              ; attention_bwd.py:204:19
	v_ashrrev_i32_e32 v1, 31, v0
	.loc	1 205 22 is_stmt 1              ; attention_bwd.py:205:22
	v_cvt_f16_f32_e32 v42, v90
	v_cvt_f16_f32_e32 v43, v91
	;; [unrolled: 1-line block ×3, first 2 shown]
	.loc	1 204 50                        ; attention_bwd.py:204:50
	v_lshlrev_b64_e32 v[188:189], 1, v[2:3]
	.loc	1 204 19 is_stmt 0              ; attention_bwd.py:204:19
	v_lshlrev_b64_e32 v[178:179], 1, v[0:1]
	.loc	1 205 22 is_stmt 1              ; attention_bwd.py:205:22
	v_cvt_f16_f32_e32 v45, v93
	v_cvt_f16_f32_e32 v46, v94
	;; [unrolled: 1-line block ×5, first 2 shown]
	.loc	1 204 19                        ; attention_bwd.py:204:19
	v_add_co_u32 v2, vcc_lo, s0, v178
	s_wait_alu depctr_va_vcc(0)
	v_add_co_ci_u32_e64 v3, null, s1, v179, vcc_lo
	.loc	1 205 22                        ; attention_bwd.py:205:22
	v_cvt_f16_f32_e32 v50, v82
	s_delay_alu instid0(VALU_DEP_3) | instskip(SKIP_1) | instid1(VALU_DEP_3)
	.loc	1 204 50                        ; attention_bwd.py:204:50
	v_add_co_u32 v0, vcc_lo, v2, v188
	s_wait_alu depctr_va_vcc(0)
	v_add_co_ci_u32_e64 v1, null, v3, v189, vcc_lo
	.loc	1 205 22                        ; attention_bwd.py:205:22
	v_cvt_f16_f32_e32 v51, v83
	v_cvt_f16_f32_e32 v52, v84
	;; [unrolled: 1-line block ×3, first 2 shown]
	global_store_b16 v[0:1], v32, off
	.loc	1 171 58                        ; attention_bwd.py:171:58
	v_or_b32_e32 v0, 1, v68
	.loc	1 205 22                        ; attention_bwd.py:205:22
	v_cvt_f16_f32_e32 v54, v86
	v_cvt_f16_f32_e32 v55, v87
	v_cvt_f16_f32_e32 v56, v72
	v_cvt_f16_f32_e32 v57, v73
	.loc	1 171 69                        ; attention_bwd.py:171:69
	v_mul_lo_u32 v0, s15, v0
	.loc	1 205 22                        ; attention_bwd.py:205:22
	v_cvt_f16_f32_e32 v58, v74
	v_cvt_f16_f32_e32 v59, v75
	;; [unrolled: 1-line block ×5, first 2 shown]
	.loc	1 153 10                        ; attention_bwd.py:153:10
	v_writelane_b32 v255, s8, 17
	s_add_nc_u64 s[0:1], s[10:11], s[12:13]
	.loc	1 204 50                        ; attention_bwd.py:204:50
	v_ashrrev_i32_e32 v1, 31, v0
	.loc	1 205 22                        ; attention_bwd.py:205:22
	v_cvt_f16_f32_e32 v63, v79
	v_readlane_b32 s16, v252, 7
	.loc	1 153 10                        ; attention_bwd.py:153:10
	v_writelane_b32 v255, s9, 18
	v_readlane_b32 s17, v252, 8
	.loc	1 204 50                        ; attention_bwd.py:204:50
	v_lshlrev_b64_e32 v[190:191], 1, v[0:1]
	v_readlane_b32 s28, v252, 9
	v_readlane_b32 s29, v252, 10
	.loc	1 153 10                        ; attention_bwd.py:153:10
	v_writelane_b32 v255, s10, 19
	v_readlane_b32 s30, v252, 11
	v_readlane_b32 s31, v252, 12
	.loc	1 204 50                        ; attention_bwd.py:204:50
	v_add_co_u32 v0, vcc_lo, v2, v190
	s_wait_alu depctr_va_vcc(0)
	v_add_co_ci_u32_e64 v1, null, v3, v191, vcc_lo
	.loc	1 153 10                        ; attention_bwd.py:153:10
	v_writelane_b32 v255, s11, 20
	v_readlane_b32 s8, v252, 5
	v_readlane_b32 s9, v252, 6
	.loc	1 205 22                        ; attention_bwd.py:205:22
	global_store_b16 v[0:1], v33, off
	.loc	1 171 58                        ; attention_bwd.py:171:58
	v_or_b32_e32 v0, 2, v68
	s_mov_b32 s3, s4
	.loc	1 220 20                        ; attention_bwd.py:220:20
	s_add_nc_u64 s[4:5], s[82:83], s[16:17]
	v_readlane_b32 s36, v252, 13
	v_readlane_b32 s37, v252, 14
	.loc	1 171 69                        ; attention_bwd.py:171:69
	v_mul_lo_u32 v0, s15, v0
	.loc	1 220 20                        ; attention_bwd.py:220:20
	s_add_nc_u64 s[10:11], s[82:83], s[28:29]
	v_readlane_b32 s38, v252, 15
	v_readlane_b32 s39, v252, 16
	v_readlane_b32 s40, v252, 17
	v_readlane_b32 s41, v252, 18
	s_add_nc_u64 s[18:19], s[82:83], s[36:37]
	v_readlane_b32 s80, v252, 19
	.loc	1 204 50                        ; attention_bwd.py:204:50
	v_ashrrev_i32_e32 v1, 31, v0
	v_readlane_b32 s81, v252, 20
	.loc	1 220 20                        ; attention_bwd.py:220:20
	s_add_nc_u64 s[54:55], s[82:83], s[38:39]
	v_readlane_b32 s86, v252, 21
	v_readlane_b32 s87, v252, 22
	.loc	1 204 50                        ; attention_bwd.py:204:50
	v_lshlrev_b64_e32 v[192:193], 1, v[0:1]
	.loc	1 220 20                        ; attention_bwd.py:220:20
	s_add_nc_u64 s[56:57], s[82:83], s[40:41]
	v_readlane_b32 s88, v252, 23
	v_readlane_b32 s89, v252, 24
	s_add_nc_u64 s[58:59], s[82:83], s[80:81]
	v_readlane_b32 s92, v252, 25
	.loc	1 204 50                        ; attention_bwd.py:204:50
	v_add_co_u32 v0, vcc_lo, v2, v192
	s_wait_alu depctr_va_vcc(0)
	v_add_co_ci_u32_e64 v1, null, v3, v193, vcc_lo
	v_readlane_b32 s93, v252, 26
	v_readlane_b32 s94, v252, 27
	;; [unrolled: 1-line block ×3, first 2 shown]
	.loc	1 205 22                        ; attention_bwd.py:205:22
	global_store_b16 v[0:1], v34, off
	.loc	1 171 58                        ; attention_bwd.py:171:58
	v_or_b32_e32 v0, 3, v68
	v_readlane_b32 s96, v252, 29
	v_readlane_b32 s97, v252, 30
	v_readlane_b32 s98, v252, 31
	v_readlane_b32 s99, v254, 0
	.loc	1 171 69 is_stmt 0              ; attention_bwd.py:171:69
	v_mul_lo_u32 v0, s15, v0
	v_readlane_b32 s100, v254, 1
	v_readlane_b32 s101, v254, 2
	;; [unrolled: 1-line block ×7, first 2 shown]
	.loc	1 204 50 is_stmt 1              ; attention_bwd.py:204:50
	v_ashrrev_i32_e32 v1, 31, v0
	v_readlane_b32 s51, v254, 8
	v_readlane_b32 s78, v254, 9
	;; [unrolled: 1-line block ×4, first 2 shown]
	v_lshlrev_b64_e32 v[194:195], 1, v[0:1]
	v_readlane_b32 s91, v254, 12
	v_readlane_b32 s52, v254, 13
	;; [unrolled: 1-line block ×5, first 2 shown]
	v_add_co_u32 v0, vcc_lo, v2, v194
	s_wait_alu depctr_va_vcc(0)
	v_add_co_ci_u32_e64 v1, null, v3, v195, vcc_lo
	v_readlane_b32 s48, v254, 17
	v_readlane_b32 s49, v254, 18
	;; [unrolled: 1-line block ×3, first 2 shown]
	.loc	1 205 22                        ; attention_bwd.py:205:22
	global_store_b16 v[0:1], v35, off
	.loc	1 171 58                        ; attention_bwd.py:171:58
	v_or_b32_e32 v0, 4, v68
	v_readlane_b32 s77, v254, 20
	v_readlane_b32 s44, v254, 21
	;; [unrolled: 1-line block ×4, first 2 shown]
	.loc	1 171 69 is_stmt 0              ; attention_bwd.py:171:69
	v_mul_lo_u32 v0, s15, v0
	v_readlane_b32 s47, v254, 24
	v_readlane_b32 s42, v254, 25
	;; [unrolled: 1-line block ×7, first 2 shown]
	.loc	1 204 50 is_stmt 1              ; attention_bwd.py:204:50
	v_ashrrev_i32_e32 v1, 31, v0
	v_readlane_b32 s24, v254, 31
	v_readlane_b32 s25, v253, 0
	;; [unrolled: 1-line block ×4, first 2 shown]
	v_lshlrev_b64_e32 v[196:197], 1, v[0:1]
	v_readlane_b32 s34, v253, 3
	v_readlane_b32 s35, v253, 4
	.loc	1 222 22                        ; attention_bwd.py:222:22
	s_add_nc_u64 s[64:65], s[84:85], s[16:17]
	s_add_nc_u64 s[66:67], s[84:85], s[28:29]
	;; [unrolled: 1-line block ×3, first 2 shown]
	.loc	1 204 50                        ; attention_bwd.py:204:50
	v_add_co_u32 v0, vcc_lo, v2, v196
	s_wait_alu depctr_va_vcc(0)
	v_add_co_ci_u32_e64 v1, null, v3, v197, vcc_lo
	.loc	1 220 20                        ; attention_bwd.py:220:20
	s_add_nc_u64 s[60:61], s[82:83], s[34:35]
	.loc	1 222 22                        ; attention_bwd.py:222:22
	s_add_nc_u64 s[70:71], s[84:85], s[36:37]
	s_add_nc_u64 s[72:73], s[84:85], s[38:39]
	.loc	1 205 22                        ; attention_bwd.py:205:22
	global_store_b16 v[0:1], v36, off
	.loc	1 171 58                        ; attention_bwd.py:171:58
	v_or_b32_e32 v0, 5, v68
	.loc	1 222 22                        ; attention_bwd.py:222:22
	s_add_nc_u64 s[74:75], s[84:85], s[40:41]
	s_add_nc_u64 s[80:81], s[84:85], s[80:81]
	;; [unrolled: 1-line block ×4, first 2 shown]
	.loc	1 171 69                        ; attention_bwd.py:171:69
	v_mul_lo_u32 v0, s15, v0
	.loc	1 222 22                        ; attention_bwd.py:222:22
	s_add_nc_u64 s[36:37], s[84:85], s[62:63]
	s_add_nc_u64 s[38:39], s[84:85], s[48:49]
	;; [unrolled: 1-line block ×3, first 2 shown]
	s_delay_alu instid0(VALU_DEP_1) | instskip(NEXT) | instid1(VALU_DEP_1)
	.loc	1 204 50                        ; attention_bwd.py:204:50
	v_ashrrev_i32_e32 v1, 31, v0
	v_lshlrev_b64_e32 v[198:199], 1, v[0:1]
	s_delay_alu instid0(VALU_DEP_1) | instskip(SKIP_1) | instid1(VALU_DEP_2)
	v_add_co_u32 v0, vcc_lo, v2, v198
	s_wait_alu depctr_va_vcc(0)
	v_add_co_ci_u32_e64 v1, null, v3, v199, vcc_lo
	.loc	1 205 22                        ; attention_bwd.py:205:22
	global_store_b16 v[0:1], v37, off
	.loc	1 171 58                        ; attention_bwd.py:171:58
	v_or_b32_e32 v0, 6, v68
	s_delay_alu instid0(VALU_DEP_1) | instskip(NEXT) | instid1(VALU_DEP_1)
	.loc	1 171 69 is_stmt 0              ; attention_bwd.py:171:69
	v_mul_lo_u32 v0, s15, v0
	.loc	1 204 50 is_stmt 1              ; attention_bwd.py:204:50
	v_ashrrev_i32_e32 v1, 31, v0
	s_delay_alu instid0(VALU_DEP_1) | instskip(NEXT) | instid1(VALU_DEP_1)
	v_lshlrev_b64_e32 v[200:201], 1, v[0:1]
	v_add_co_u32 v0, vcc_lo, v2, v200
	s_wait_alu depctr_va_vcc(0)
	s_delay_alu instid0(VALU_DEP_2) | instskip(SKIP_2) | instid1(VALU_DEP_1)
	v_add_co_ci_u32_e64 v1, null, v3, v201, vcc_lo
	.loc	1 205 22                        ; attention_bwd.py:205:22
	global_store_b16 v[0:1], v38, off
	.loc	1 171 58                        ; attention_bwd.py:171:58
	v_or_b32_e32 v0, 7, v68
	.loc	1 171 69 is_stmt 0              ; attention_bwd.py:171:69
	v_mul_lo_u32 v0, s15, v0
	s_delay_alu instid0(VALU_DEP_1) | instskip(NEXT) | instid1(VALU_DEP_1)
	.loc	1 204 50 is_stmt 1              ; attention_bwd.py:204:50
	v_ashrrev_i32_e32 v1, 31, v0
	v_lshlrev_b64_e32 v[202:203], 1, v[0:1]
	s_delay_alu instid0(VALU_DEP_1) | instskip(SKIP_1) | instid1(VALU_DEP_2)
	v_add_co_u32 v0, vcc_lo, v2, v202
	s_wait_alu depctr_va_vcc(0)
	v_add_co_ci_u32_e64 v1, null, v3, v203, vcc_lo
	.loc	1 205 22                        ; attention_bwd.py:205:22
	global_store_b16 v[0:1], v39, off
	.loc	1 171 58                        ; attention_bwd.py:171:58
	v_or_b32_e32 v0, 32, v68
	s_delay_alu instid0(VALU_DEP_1) | instskip(NEXT) | instid1(VALU_DEP_1)
	.loc	1 171 69 is_stmt 0              ; attention_bwd.py:171:69
	v_mul_lo_u32 v0, s15, v0
	.loc	1 204 50 is_stmt 1              ; attention_bwd.py:204:50
	v_ashrrev_i32_e32 v1, 31, v0
	s_delay_alu instid0(VALU_DEP_1) | instskip(NEXT) | instid1(VALU_DEP_1)
	v_lshlrev_b64_e32 v[216:217], 1, v[0:1]
	v_add_co_u32 v0, vcc_lo, v2, v216
	s_wait_alu depctr_va_vcc(0)
	s_delay_alu instid0(VALU_DEP_2) | instskip(SKIP_2) | instid1(VALU_DEP_1)
	v_add_co_ci_u32_e64 v1, null, v3, v217, vcc_lo
	.loc	1 205 22                        ; attention_bwd.py:205:22
	global_store_b16 v[0:1], v40, off
	.loc	1 171 58                        ; attention_bwd.py:171:58
	v_or_b32_e32 v0, 33, v68
	.loc	1 171 69 is_stmt 0              ; attention_bwd.py:171:69
	v_mul_lo_u32 v0, s15, v0
	s_delay_alu instid0(VALU_DEP_1) | instskip(NEXT) | instid1(VALU_DEP_1)
	.loc	1 204 50 is_stmt 1              ; attention_bwd.py:204:50
	;; [unrolled: 29-line block ×4, first 2 shown]
	v_ashrrev_i32_e32 v1, 31, v0
	v_lshlrev_b64_e32 v[34:35], 1, v[0:1]
	scratch_store_b64 off, v[32:33], off offset:480 ; 8-byte Folded Spill
	v_add_co_u32 v0, vcc_lo, v2, v34
	s_wait_alu depctr_va_vcc(0)
	v_add_co_ci_u32_e64 v1, null, v3, v35, vcc_lo
	.loc	1 205 22                        ; attention_bwd.py:205:22
	global_store_b16 v[0:1], v45, off
	.loc	1 171 58                        ; attention_bwd.py:171:58
	v_or_b32_e32 v0, 38, v68
	s_delay_alu instid0(VALU_DEP_1) | instskip(NEXT) | instid1(VALU_DEP_1)
	.loc	1 171 69 is_stmt 0              ; attention_bwd.py:171:69
	v_mul_lo_u32 v0, s15, v0
	.loc	1 204 50 is_stmt 1              ; attention_bwd.py:204:50
	v_ashrrev_i32_e32 v1, 31, v0
	s_delay_alu instid0(VALU_DEP_1)
	v_lshlrev_b64_e32 v[36:37], 1, v[0:1]
	scratch_store_b64 off, v[34:35], off offset:488 ; 8-byte Folded Spill
	v_add_co_u32 v0, vcc_lo, v2, v36
	s_wait_alu depctr_va_vcc(0)
	v_add_co_ci_u32_e64 v1, null, v3, v37, vcc_lo
	.loc	1 205 22                        ; attention_bwd.py:205:22
	global_store_b16 v[0:1], v46, off
	.loc	1 171 58                        ; attention_bwd.py:171:58
	v_or_b32_e32 v0, 39, v68
	s_delay_alu instid0(VALU_DEP_1) | instskip(NEXT) | instid1(VALU_DEP_1)
	.loc	1 171 69 is_stmt 0              ; attention_bwd.py:171:69
	v_mul_lo_u32 v0, s15, v0
	.loc	1 204 50 is_stmt 1              ; attention_bwd.py:204:50
	v_ashrrev_i32_e32 v1, 31, v0
	s_delay_alu instid0(VALU_DEP_1)
	v_lshlrev_b64_e32 v[38:39], 1, v[0:1]
	s_clause 0x1                            ; 16-byte Folded Spill
	scratch_store_b64 off, v[36:37], off offset:496
	scratch_store_b64 off, v[38:39], off offset:504
	v_add_co_u32 v0, vcc_lo, v2, v38
	s_wait_alu depctr_va_vcc(0)
	v_add_co_ci_u32_e64 v1, null, v3, v39, vcc_lo
	.loc	1 205 22                        ; attention_bwd.py:205:22
	global_store_b16 v[0:1], v47, off
	.loc	1 171 58                        ; attention_bwd.py:171:58
	v_or_b32_e32 v0, 64, v68
	s_delay_alu instid0(VALU_DEP_1) | instskip(NEXT) | instid1(VALU_DEP_1)
	.loc	1 171 69 is_stmt 0              ; attention_bwd.py:171:69
	v_mul_lo_u32 v0, s15, v0
	.loc	1 204 50 is_stmt 1              ; attention_bwd.py:204:50
	v_ashrrev_i32_e32 v1, 31, v0
	s_delay_alu instid0(VALU_DEP_1) | instskip(NEXT) | instid1(VALU_DEP_1)
	v_lshlrev_b64_e32 v[40:41], 1, v[0:1]
	v_add_co_u32 v0, vcc_lo, v2, v40
	s_wait_alu depctr_va_vcc(0)
	s_delay_alu instid0(VALU_DEP_2) | instskip(SKIP_2) | instid1(VALU_DEP_1)
	v_add_co_ci_u32_e64 v1, null, v3, v41, vcc_lo
	.loc	1 205 22                        ; attention_bwd.py:205:22
	global_store_b16 v[0:1], v48, off
	.loc	1 171 58                        ; attention_bwd.py:171:58
	v_or_b32_e32 v0, 0x41, v68
	.loc	1 171 69 is_stmt 0              ; attention_bwd.py:171:69
	v_mul_lo_u32 v0, s15, v0
	s_delay_alu instid0(VALU_DEP_1) | instskip(NEXT) | instid1(VALU_DEP_1)
	.loc	1 204 50 is_stmt 1              ; attention_bwd.py:204:50
	v_ashrrev_i32_e32 v1, 31, v0
	v_lshlrev_b64_e32 v[42:43], 1, v[0:1]
	scratch_store_b64 off, v[40:41], off offset:512 ; 8-byte Folded Spill
	v_add_co_u32 v0, vcc_lo, v2, v42
	s_wait_alu depctr_va_vcc(0)
	v_add_co_ci_u32_e64 v1, null, v3, v43, vcc_lo
	.loc	1 205 22                        ; attention_bwd.py:205:22
	global_store_b16 v[0:1], v49, off
	.loc	1 171 58                        ; attention_bwd.py:171:58
	v_or_b32_e32 v0, 0x42, v68
	s_delay_alu instid0(VALU_DEP_1) | instskip(NEXT) | instid1(VALU_DEP_1)
	.loc	1 171 69 is_stmt 0              ; attention_bwd.py:171:69
	v_mul_lo_u32 v0, s15, v0
	.loc	1 204 50 is_stmt 1              ; attention_bwd.py:204:50
	v_ashrrev_i32_e32 v1, 31, v0
	s_delay_alu instid0(VALU_DEP_1)
	v_lshlrev_b64_e32 v[44:45], 1, v[0:1]
	scratch_store_b64 off, v[42:43], off offset:520 ; 8-byte Folded Spill
	v_add_co_u32 v0, vcc_lo, v2, v44
	s_wait_alu depctr_va_vcc(0)
	v_add_co_ci_u32_e64 v1, null, v3, v45, vcc_lo
	.loc	1 205 22                        ; attention_bwd.py:205:22
	global_store_b16 v[0:1], v50, off
	.loc	1 171 58                        ; attention_bwd.py:171:58
	v_or_b32_e32 v0, 0x43, v68
	s_delay_alu instid0(VALU_DEP_1) | instskip(NEXT) | instid1(VALU_DEP_1)
	.loc	1 171 69 is_stmt 0              ; attention_bwd.py:171:69
	v_mul_lo_u32 v0, s15, v0
	.loc	1 204 50 is_stmt 1              ; attention_bwd.py:204:50
	v_ashrrev_i32_e32 v1, 31, v0
	s_delay_alu instid0(VALU_DEP_1)
	v_lshlrev_b64_e32 v[46:47], 1, v[0:1]
	s_clause 0x1                            ; 16-byte Folded Spill
	scratch_store_b64 off, v[44:45], off offset:528
	scratch_store_b64 off, v[46:47], off offset:536
	v_add_co_u32 v0, vcc_lo, v2, v46
	s_wait_alu depctr_va_vcc(0)
	v_add_co_ci_u32_e64 v1, null, v3, v47, vcc_lo
	.loc	1 205 22                        ; attention_bwd.py:205:22
	global_store_b16 v[0:1], v51, off
	.loc	1 171 58                        ; attention_bwd.py:171:58
	v_or_b32_e32 v0, 0x44, v68
	s_delay_alu instid0(VALU_DEP_1) | instskip(NEXT) | instid1(VALU_DEP_1)
	.loc	1 171 69 is_stmt 0              ; attention_bwd.py:171:69
	v_mul_lo_u32 v0, s15, v0
	.loc	1 204 50 is_stmt 1              ; attention_bwd.py:204:50
	v_ashrrev_i32_e32 v1, 31, v0
	s_delay_alu instid0(VALU_DEP_1) | instskip(NEXT) | instid1(VALU_DEP_1)
	v_lshlrev_b64_e32 v[48:49], 1, v[0:1]
	v_add_co_u32 v0, vcc_lo, v2, v48
	s_wait_alu depctr_va_vcc(0)
	s_delay_alu instid0(VALU_DEP_2) | instskip(SKIP_2) | instid1(VALU_DEP_1)
	v_add_co_ci_u32_e64 v1, null, v3, v49, vcc_lo
	.loc	1 205 22                        ; attention_bwd.py:205:22
	global_store_b16 v[0:1], v52, off
	.loc	1 171 58                        ; attention_bwd.py:171:58
	v_or_b32_e32 v0, 0x45, v68
	.loc	1 171 69 is_stmt 0              ; attention_bwd.py:171:69
	v_mul_lo_u32 v0, s15, v0
	s_delay_alu instid0(VALU_DEP_1) | instskip(NEXT) | instid1(VALU_DEP_1)
	.loc	1 204 50 is_stmt 1              ; attention_bwd.py:204:50
	;; [unrolled: 61-line block ×4, first 2 shown]
	v_ashrrev_i32_e32 v1, 31, v0
	v_lshlrev_b64_e32 v[75:76], 1, v[0:1]
	scratch_store_b64 off, v[58:59], off offset:608 ; 8-byte Folded Spill
	v_add_co_u32 v0, vcc_lo, v2, v75
	s_wait_alu depctr_va_vcc(0)
	v_add_co_ci_u32_e64 v1, null, v3, v76, vcc_lo
	.loc	1 205 22                        ; attention_bwd.py:205:22
	global_store_b16 v[0:1], v61, off
	.loc	1 171 58                        ; attention_bwd.py:171:58
	v_or_b32_e32 v0, 0x66, v68
	s_delay_alu instid0(VALU_DEP_1) | instskip(NEXT) | instid1(VALU_DEP_1)
	.loc	1 171 69 is_stmt 0              ; attention_bwd.py:171:69
	v_mul_lo_u32 v0, s15, v0
	.loc	1 204 50 is_stmt 1              ; attention_bwd.py:204:50
	v_ashrrev_i32_e32 v1, 31, v0
	s_delay_alu instid0(VALU_DEP_1) | instskip(NEXT) | instid1(VALU_DEP_1)
	v_lshlrev_b64_e32 v[77:78], 1, v[0:1]
	v_add_co_u32 v0, vcc_lo, v2, v77
	s_wait_alu depctr_va_vcc(0)
	s_delay_alu instid0(VALU_DEP_2) | instskip(SKIP_2) | instid1(VALU_DEP_1)
	v_add_co_ci_u32_e64 v1, null, v3, v78, vcc_lo
	.loc	1 205 22                        ; attention_bwd.py:205:22
	global_store_b16 v[0:1], v62, off
	.loc	1 171 58                        ; attention_bwd.py:171:58
	v_or_b32_e32 v0, 0x67, v68
	.loc	1 171 69 is_stmt 0              ; attention_bwd.py:171:69
	v_mul_lo_u32 v0, s15, v0
	.loc	1 220 20 is_stmt 1              ; attention_bwd.py:220:20
	s_add_nc_u64 s[14:15], s[82:83], s[30:31]
	.loc	1 222 22                        ; attention_bwd.py:222:22
	s_add_nc_u64 s[30:31], s[84:85], s[52:53]
	s_delay_alu instid0(VALU_DEP_1) | instskip(NEXT) | instid1(VALU_DEP_1)
	.loc	1 204 50                        ; attention_bwd.py:204:50
	v_ashrrev_i32_e32 v1, 31, v0
	v_lshlrev_b64_e32 v[60:61], 1, v[0:1]
	s_clause 0x2                            ; 24-byte Folded Spill
	scratch_store_b64 off, v[75:76], off offset:616
	scratch_store_b64 off, v[77:78], off offset:632
	;; [unrolled: 1-line block ×3, first 2 shown]
	v_add_co_u32 v0, vcc_lo, v2, v60
	s_wait_alu depctr_va_vcc(0)
	v_add_co_ci_u32_e64 v1, null, v3, v61, vcc_lo
	.loc	1 209 19                        ; attention_bwd.py:209:19
	s_wait_alu depctr_sa_sdst(0)
	v_add_co_u32 v2, vcc_lo, s0, v178
	s_wait_alu depctr_va_vcc(0)
	v_add_co_ci_u32_e64 v3, null, s1, v179, vcc_lo
	.loc	1 205 22                        ; attention_bwd.py:205:22
	global_store_b16 v[0:1], v63, off
	.loc	1 209 50                        ; attention_bwd.py:209:50
	v_add_co_u32 v0, vcc_lo, v2, v188
	s_wait_alu depctr_va_vcc(0)
	v_add_co_ci_u32_e64 v1, null, v3, v189, vcc_lo
	.loc	1 220 20                        ; attention_bwd.py:220:20
	s_add_nc_u64 s[0:1], s[82:83], s[8:9]
	.loc	1 210 22                        ; attention_bwd.py:210:22
	global_store_b16 v[0:1], v24, off
	.loc	1 209 50                        ; attention_bwd.py:209:50
	v_add_co_u32 v0, vcc_lo, v2, v190
	s_wait_alu depctr_va_vcc(0)
	v_add_co_ci_u32_e64 v1, null, v3, v191, vcc_lo
	.loc	1 210 22                        ; attention_bwd.py:210:22
	global_store_b16 v[0:1], v25, off
	.loc	1 209 50                        ; attention_bwd.py:209:50
	v_add_co_u32 v0, vcc_lo, v2, v192
	s_wait_alu depctr_va_vcc(0)
	v_add_co_ci_u32_e64 v1, null, v3, v193, vcc_lo
	;; [unrolled: 6-line block ×31, first 2 shown]
	.loc	1 210 22                        ; attention_bwd.py:210:22
	global_store_b16 v[0:1], v7, off
	.loc	1 220 51                        ; attention_bwd.py:220:51
	s_wait_alu depctr_sa_sdst(0)
	v_add_co_u32 v0, vcc_lo, s0, v162
	s_wait_alu depctr_va_vcc(0)
	v_add_co_ci_u32_e64 v1, null, s1, v163, vcc_lo
	v_add_co_u32 v2, vcc_lo, s4, v162
	s_wait_alu depctr_va_vcc(0)
	v_add_co_ci_u32_e64 v3, null, s5, v163, vcc_lo
	;; [unrolled: 3-line block ×6, first 2 shown]
	v_add_co_u32 v12, vcc_lo, s56, v162
	.loc	1 220 20 is_stmt 0              ; attention_bwd.py:220:20
	s_add_nc_u64 s[0:1], s[82:83], s[86:87]
	.loc	1 220 51                        ; attention_bwd.py:220:51
	s_wait_alu depctr_va_vcc(0)
	v_add_co_ci_u32_e64 v13, null, s57, v163, vcc_lo
	v_add_co_u32 v14, vcc_lo, s58, v162
	.loc	1 220 20                        ; attention_bwd.py:220:20
	s_add_nc_u64 s[4:5], s[82:83], s[88:89]
	.loc	1 220 51                        ; attention_bwd.py:220:51
	s_wait_alu depctr_va_vcc(0)
	v_add_co_ci_u32_e64 v15, null, s59, v163, vcc_lo
	s_wait_alu depctr_sa_sdst(0)
	v_add_co_u32 v16, vcc_lo, s0, v162
	.loc	1 220 20                        ; attention_bwd.py:220:20
	s_add_nc_u64 s[10:11], s[82:83], s[92:93]
	.loc	1 220 51                        ; attention_bwd.py:220:51
	s_wait_alu depctr_va_vcc(0)
	v_add_co_ci_u32_e64 v17, null, s1, v163, vcc_lo
	v_add_co_u32 v18, vcc_lo, s4, v162
	.loc	1 220 20                        ; attention_bwd.py:220:20
	s_add_nc_u64 s[14:15], s[82:83], s[94:95]
	.loc	1 220 51                        ; attention_bwd.py:220:51
	s_wait_alu depctr_va_vcc(0)
	v_add_co_ci_u32_e64 v19, null, s5, v163, vcc_lo
	s_wait_alu depctr_sa_sdst(0)
	v_add_co_u32 v20, vcc_lo, s10, v162
	.loc	1 220 20                        ; attention_bwd.py:220:20
	;; [unrolled: 13-line block ×11, first 2 shown]
	s_add_nc_u64 s[56:57], s[82:83], s[22:23]
	.loc	1 220 51                        ; attention_bwd.py:220:51
	s_wait_alu depctr_va_vcc(0)
	v_add_co_ci_u32_e64 v57, null, s19, v163, vcc_lo
	v_add_co_u32 v58, vcc_lo, s54, v162
	s_wait_alu depctr_va_vcc(0)
	v_add_co_ci_u32_e64 v59, null, s55, v163, vcc_lo
	s_wait_alu depctr_sa_sdst(0)
	v_add_co_u32 v60, vcc_lo, s56, v162
	s_wait_alu depctr_va_vcc(0)
	v_add_co_ci_u32_e64 v61, null, s57, v163, vcc_lo
	v_add_co_u32 v62, vcc_lo, s60, v162
	s_wait_alu depctr_va_vcc(0)
	v_add_co_ci_u32_e64 v63, null, s61, v163, vcc_lo
	.loc	1 220 16                        ; attention_bwd.py:220:16
	s_clause 0x1f
	global_load_u16 v0, v[0:1], off
	global_load_u16 v1, v[2:3], off
	;; [unrolled: 1-line block ×32, first 2 shown]
	s_clause 0x3                            ; 16-byte Folded Reload
	scratch_load_b32 v33, off, off offset:888 th:TH_LOAD_LU
	scratch_load_b32 v35, off, off offset:896 th:TH_LOAD_LU
	;; [unrolled: 1-line block ×4, first 2 shown]
	.loc	1 222 22 is_stmt 1              ; attention_bwd.py:222:22
	s_add_nc_u64 s[60:61], s[84:85], s[8:9]
	s_add_nc_u64 s[82:83], s[84:85], s[86:87]
	.loc	1 222 53 is_stmt 0              ; attention_bwd.py:222:53
	s_wait_alu depctr_sa_sdst(0)
	v_add_co_u32 v64, vcc_lo, s60, v162
	s_wait_alu depctr_va_vcc(0)
	v_add_co_ci_u32_e64 v65, null, s61, v163, vcc_lo
	v_add_co_u32 v66, vcc_lo, s64, v162
	s_wait_alu depctr_va_vcc(0)
	v_add_co_ci_u32_e64 v67, null, s65, v163, vcc_lo
	;; [unrolled: 3-line block ×7, first 2 shown]
	v_add_co_u32 v78, vcc_lo, s80, v162
	.loc	1 222 22                        ; attention_bwd.py:222:22
	s_add_nc_u64 s[86:87], s[84:85], s[88:89]
	.loc	1 222 53                        ; attention_bwd.py:222:53
	s_wait_alu depctr_va_vcc(0)
	v_add_co_ci_u32_e64 v79, null, s81, v163, vcc_lo
	v_add_co_u32 v80, vcc_lo, s82, v162
	.loc	1 222 22                        ; attention_bwd.py:222:22
	s_add_nc_u64 s[88:89], s[84:85], s[92:93]
	.loc	1 222 53                        ; attention_bwd.py:222:53
	s_wait_alu depctr_va_vcc(0)
	v_add_co_ci_u32_e64 v81, null, s83, v163, vcc_lo
	s_wait_alu depctr_sa_sdst(0)
	v_add_co_u32 v82, vcc_lo, s86, v162
	.loc	1 222 22                        ; attention_bwd.py:222:22
	s_add_nc_u64 s[92:93], s[84:85], s[94:95]
	.loc	1 222 53                        ; attention_bwd.py:222:53
	s_wait_alu depctr_va_vcc(0)
	v_add_co_ci_u32_e64 v83, null, s87, v163, vcc_lo
	v_add_co_u32 v84, vcc_lo, s88, v162
	.loc	1 222 22                        ; attention_bwd.py:222:22
	s_add_nc_u64 s[94:95], s[84:85], s[96:97]
	.loc	1 222 53                        ; attention_bwd.py:222:53
	s_wait_alu depctr_va_vcc(0)
	v_add_co_ci_u32_e64 v85, null, s89, v163, vcc_lo
	s_wait_alu depctr_sa_sdst(0)
	;; [unrolled: 13-line block ×4, first 2 shown]
	v_add_co_u32 v94, vcc_lo, s100, v162
	.loc	1 222 22                        ; attention_bwd.py:222:22
	s_add_nc_u64 s[8:9], s[84:85], s[50:51]
	.loc	1 222 53                        ; attention_bwd.py:222:53
	s_wait_alu depctr_va_vcc(0)
	v_add_co_ci_u32_e64 v95, null, s101, v163, vcc_lo
	v_add_co_u32 v96, vcc_lo, s102, v162
	s_wait_alu depctr_va_vcc(0)
	v_add_co_ci_u32_e64 v97, null, s103, v163, vcc_lo
	s_wait_alu depctr_sa_sdst(0)
	v_add_co_u32 v98, vcc_lo, s8, v162
	s_wait_alu depctr_va_vcc(0)
	v_add_co_ci_u32_e64 v99, null, s9, v163, vcc_lo
	v_add_co_u32 v100, vcc_lo, s16, v162
	s_wait_alu depctr_va_vcc(0)
	v_add_co_ci_u32_e64 v101, null, s17, v163, vcc_lo
	;; [unrolled: 3-line block ×5, first 2 shown]
	v_add_co_u32 v108, vcc_lo, s38, v162
	.loc	1 222 22                        ; attention_bwd.py:222:22
	s_add_nc_u64 s[58:59], s[84:85], s[44:45]
	.loc	1 222 53                        ; attention_bwd.py:222:53
	s_wait_alu depctr_va_vcc(0)
	v_add_co_ci_u32_e64 v109, null, s39, v163, vcc_lo
	v_add_co_u32 v110, vcc_lo, s40, v162
	.loc	1 222 22                        ; attention_bwd.py:222:22
	s_add_nc_u64 s[56:57], s[84:85], s[46:47]
	.loc	1 222 53                        ; attention_bwd.py:222:53
	s_wait_alu depctr_va_vcc(0)
	v_add_co_ci_u32_e64 v111, null, s41, v163, vcc_lo
	s_wait_alu depctr_sa_sdst(0)
	v_add_co_u32 v112, vcc_lo, s58, v162
	.loc	1 222 22                        ; attention_bwd.py:222:22
	s_add_nc_u64 s[54:55], s[84:85], s[42:43]
	.loc	1 222 53                        ; attention_bwd.py:222:53
	s_wait_alu depctr_va_vcc(0)
	v_add_co_ci_u32_e64 v113, null, s59, v163, vcc_lo
	v_add_co_u32 v114, vcc_lo, s56, v162
	.loc	1 222 22                        ; attention_bwd.py:222:22
	s_add_nc_u64 s[18:19], s[84:85], s[20:21]
	.loc	1 222 53                        ; attention_bwd.py:222:53
	s_wait_alu depctr_va_vcc(0)
	v_add_co_ci_u32_e64 v115, null, s57, v163, vcc_lo
	s_wait_alu depctr_sa_sdst(0)
	v_add_co_u32 v116, vcc_lo, s54, v162
	.loc	1 222 22                        ; attention_bwd.py:222:22
	s_add_nc_u64 s[14:15], s[84:85], s[6:7]
	.loc	1 222 53                        ; attention_bwd.py:222:53
	s_wait_alu depctr_va_vcc(0)
	v_add_co_ci_u32_e64 v117, null, s55, v163, vcc_lo
	v_add_co_u32 v118, vcc_lo, s18, v162
	.loc	1 220 16 is_stmt 1              ; attention_bwd.py:220:16
	s_wait_loadcnt 0x3
	ds_store_b16 v33, v0
	ds_store_b16 v33, v8 offset:4096
	ds_store_b16 v33, v16 offset:8192
	ds_store_b16 v33, v24 offset:12288
	s_wait_loadcnt 0x2
	ds_store_b16 v35, v1 offset:512
	ds_store_b16 v35, v9 offset:4608
	ds_store_b16 v35, v17 offset:8704
	ds_store_b16 v35, v25 offset:12800
	s_wait_loadcnt 0x1
	ds_store_b16 v34, v2 offset:1024
	;; [unrolled: 5-line block ×3, first 2 shown]
	ds_store_b16 v32, v11 offset:5632
	ds_store_b16 v32, v19 offset:9728
	;; [unrolled: 1-line block ×19, first 2 shown]
	.loc	1 222 22                        ; attention_bwd.py:222:22
	s_add_nc_u64 s[10:11], s[84:85], s[24:25]
	.loc	1 222 53 is_stmt 0              ; attention_bwd.py:222:53
	s_wait_alu depctr_va_vcc(0)
	v_add_co_ci_u32_e64 v119, null, s19, v163, vcc_lo
	s_wait_alu depctr_sa_sdst(0)
	v_add_co_u32 v120, vcc_lo, s14, v162
	.loc	1 222 22                        ; attention_bwd.py:222:22
	s_add_nc_u64 s[4:5], s[84:85], s[22:23]
	.loc	1 222 53                        ; attention_bwd.py:222:53
	s_wait_alu depctr_va_vcc(0)
	v_add_co_ci_u32_e64 v121, null, s15, v163, vcc_lo
	v_add_co_u32 v122, vcc_lo, s10, v162
	.loc	1 222 22                        ; attention_bwd.py:222:22
	s_add_nc_u64 s[0:1], s[84:85], s[34:35]
	.loc	1 222 53                        ; attention_bwd.py:222:53
	s_wait_alu depctr_va_vcc(0)
	v_add_co_ci_u32_e64 v123, null, s11, v163, vcc_lo
	s_wait_alu depctr_sa_sdst(0)
	v_add_co_u32 v124, vcc_lo, s4, v162
	s_wait_alu depctr_va_vcc(0)
	v_add_co_ci_u32_e64 v125, null, s5, v163, vcc_lo
	v_add_co_u32 v126, vcc_lo, s0, v162
	s_wait_alu depctr_va_vcc(0)
	v_add_co_ci_u32_e64 v127, null, s1, v163, vcc_lo
	v_readlane_b32 s0, v252, 1
	v_readlane_b32 s1, v252, 2
	;; [unrolled: 1-line block ×3, first 2 shown]
	v_mov_b32_e32 v37, 0
	v_readlane_b32 s7, v255, 14
.Ltmp26:
	.loc	1 102 21 is_stmt 1              ; attention_bwd.py:102:21 @[ attention_bwd.py:253:40 ]
	s_and_b32 vcc_lo, exec_lo, s2
.Ltmp27:
	.loc	1 220 16                        ; attention_bwd.py:220:16
	s_wait_storecnt_dscnt 0x0
	s_barrier_signal -1
	s_barrier_wait -1
	global_inv scope:SCOPE_SE
	s_clause 0x4                            ; 20-byte Folded Reload
	scratch_load_b32 v57, off, off offset:864
	scratch_load_b32 v58, off, off offset:876
	;; [unrolled: 1-line block ×5, first 2 shown]
	.loc	1 222 17                        ; attention_bwd.py:222:17
	s_clause 0x1f
	global_load_u16 v0, v[64:65], off
	global_load_u16 v1, v[66:67], off
	;; [unrolled: 1-line block ×32, first 2 shown]
	.loc	1 220 16                        ; attention_bwd.py:220:16
	ds_load_b128 v[100:103], v128
	s_wait_loadcnt 0x22
	ds_load_b128 v[72:75], v59
	ds_load_b128 v[84:87], v129
	;; [unrolled: 1-line block ×5, first 2 shown]
	s_wait_loadcnt 0x21
	ds_load_b128 v[76:79], v36
	s_wait_loadcnt 0x20
	ds_load_b128 v[220:223], v56
	.loc	1 222 17                        ; attention_bwd.py:222:17
	s_wait_loadcnt_dscnt 0x0
	s_barrier_signal -1
	s_barrier_wait -1
	global_inv scope:SCOPE_SE
	ds_store_b16 v33, v0
	ds_store_b16 v33, v8 offset:4096
	ds_store_b16 v33, v16 offset:8192
	;; [unrolled: 1-line block ×31, first 2 shown]
	s_wait_loadcnt_dscnt 0x0
	s_barrier_signal -1
.Ltmp28:
	.loc	1 93 18                         ; attention_bwd.py:93:18 @[ attention_bwd.py:253:40 ]
	v_add_co_u32 v0, s0, s0, v205
	s_wait_alu depctr_va_sdst(0)
	v_add_co_ci_u32_e64 v1, null, s1, v206, s0
	v_mov_b32_e32 v32, 0
.Ltmp29:
	.loc	1 222 17                        ; attention_bwd.py:222:17
	s_barrier_wait -1
	global_inv scope:SCOPE_SE
.Ltmp30:
	.loc	1 102 21                        ; attention_bwd.py:102:21 @[ attention_bwd.py:253:40 ]
	s_wait_alu depctr_sa_sdst(0)
	s_cbranch_vccnz .LBB0_80
; %bb.79:
	.loc	1 93 49                         ; attention_bwd.py:93:49 @[ attention_bwd.py:253:40 ]
	s_lshl_b64 s[0:1], s[6:7], 1
	s_wait_alu depctr_sa_sdst(0)
	v_add_co_u32 v2, vcc_lo, v0, s0
	s_wait_alu depctr_va_vcc(0)
	v_add_co_ci_u32_e64 v3, null, s1, v1, vcc_lo
	.loc	1 102 21                        ; attention_bwd.py:102:21 @[ attention_bwd.py:253:40 ]
	global_load_u16 v37, v[2:3], off
.LBB0_80:
	.loc	1 0 21 is_stmt 0                ; attention_bwd.py:0:21
	v_readlane_b32 s42, v255, 11
	v_readlane_b32 s44, v255, 7
	;; [unrolled: 1-line block ×22, first 2 shown]
	.loc	1 102 21                        ; attention_bwd.py:102:21 @[ attention_bwd.py:253:40 ]
	s_and_b32 vcc_lo, exec_lo, s2
	s_wait_alu depctr_sa_sdst(0)
	s_cbranch_vccnz .LBB0_82
; %bb.81:
	.loc	1 93 49 is_stmt 1               ; attention_bwd.py:93:49 @[ attention_bwd.py:253:40 ]
	s_lshl_b64 s[0:1], s[42:43], 1
	s_wait_alu depctr_sa_sdst(0)
	v_add_co_u32 v2, vcc_lo, v0, s0
	s_wait_alu depctr_va_vcc(0)
	v_add_co_ci_u32_e64 v3, null, s1, v1, vcc_lo
	.loc	1 102 21                        ; attention_bwd.py:102:21 @[ attention_bwd.py:253:40 ]
	global_load_u16 v32, v[2:3], off
.LBB0_82:
	.loc	1 0 21 is_stmt 0                ; attention_bwd.py:0:21
	v_readlane_b32 s52, v253, 31
	v_readlane_b32 s62, v255, 1
	;; [unrolled: 1-line block ×4, first 2 shown]
	v_dual_mov_b32 v38, 0 :: v_dual_mov_b32 v39, 0
	v_readlane_b32 s53, v255, 0
	v_readlane_b32 s63, v255, 2
	;; [unrolled: 1-line block ×4, first 2 shown]
	.loc	1 102 21                        ; attention_bwd.py:102:21 @[ attention_bwd.py:253:40 ]
	s_and_b32 vcc_lo, exec_lo, s2
	s_wait_alu depctr_sa_sdst(0)
	s_cbranch_vccz .LBB0_133
; %bb.83:
	s_and_b32 vcc_lo, exec_lo, s2
	s_wait_alu depctr_sa_sdst(0)
	s_cbranch_vccz .LBB0_134
.LBB0_84:
	.loc	1 0 21                          ; attention_bwd.py:0:21
	v_dual_mov_b32 v40, 0 :: v_dual_mov_b32 v41, 0
	.loc	1 102 21                        ; attention_bwd.py:102:21 @[ attention_bwd.py:253:40 ]
	s_and_b32 vcc_lo, exec_lo, s2
	s_wait_alu depctr_sa_sdst(0)
	s_cbranch_vccz .LBB0_135
.LBB0_85:
	s_and_b32 vcc_lo, exec_lo, s2
	s_wait_alu depctr_sa_sdst(0)
	s_cbranch_vccz .LBB0_136
.LBB0_86:
	.loc	1 0 21                          ; attention_bwd.py:0:21
	v_dual_mov_b32 v42, 0 :: v_dual_mov_b32 v43, 0
	.loc	1 102 21                        ; attention_bwd.py:102:21 @[ attention_bwd.py:253:40 ]
	s_and_b32 vcc_lo, exec_lo, s2
	s_wait_alu depctr_sa_sdst(0)
	s_cbranch_vccz .LBB0_137
.LBB0_87:
	s_and_b32 vcc_lo, exec_lo, s2
	s_wait_alu depctr_sa_sdst(0)
	s_cbranch_vccz .LBB0_138
.LBB0_88:
	.loc	1 0 21                          ; attention_bwd.py:0:21
	v_dual_mov_b32 v44, 0 :: v_dual_mov_b32 v45, 0
	.loc	1 102 21                        ; attention_bwd.py:102:21 @[ attention_bwd.py:253:40 ]
	s_and_b32 vcc_lo, exec_lo, s2
	s_wait_alu depctr_sa_sdst(0)
	s_cbranch_vccz .LBB0_139
.LBB0_89:
	s_and_b32 vcc_lo, exec_lo, s2
	s_wait_alu depctr_sa_sdst(0)
	s_cbranch_vccz .LBB0_140
.LBB0_90:
	.loc	1 0 21                          ; attention_bwd.py:0:21
	v_dual_mov_b32 v46, 0 :: v_dual_mov_b32 v47, 0
	.loc	1 102 21                        ; attention_bwd.py:102:21 @[ attention_bwd.py:253:40 ]
	s_and_b32 vcc_lo, exec_lo, s2
	s_wait_alu depctr_sa_sdst(0)
	s_cbranch_vccz .LBB0_141
.LBB0_91:
	s_and_b32 vcc_lo, exec_lo, s2
	s_wait_alu depctr_sa_sdst(0)
	s_cbranch_vccz .LBB0_142
.LBB0_92:
	.loc	1 0 21                          ; attention_bwd.py:0:21
	v_dual_mov_b32 v48, 0 :: v_dual_mov_b32 v49, 0
	.loc	1 102 21                        ; attention_bwd.py:102:21 @[ attention_bwd.py:253:40 ]
	s_and_b32 vcc_lo, exec_lo, s2
	s_wait_alu depctr_sa_sdst(0)
	s_cbranch_vccz .LBB0_143
.LBB0_93:
	s_and_b32 vcc_lo, exec_lo, s2
	s_wait_alu depctr_sa_sdst(0)
	s_cbranch_vccz .LBB0_144
.LBB0_94:
	.loc	1 0 21                          ; attention_bwd.py:0:21
	v_dual_mov_b32 v50, 0 :: v_dual_mov_b32 v51, 0
	.loc	1 102 21                        ; attention_bwd.py:102:21 @[ attention_bwd.py:253:40 ]
	s_and_b32 vcc_lo, exec_lo, s2
	s_wait_alu depctr_sa_sdst(0)
	s_cbranch_vccz .LBB0_145
.LBB0_95:
	s_and_b32 vcc_lo, exec_lo, s2
	s_wait_alu depctr_sa_sdst(0)
	s_cbranch_vccnz .LBB0_97
.LBB0_96:
	.loc	1 93 49 is_stmt 1               ; attention_bwd.py:93:49 @[ attention_bwd.py:253:40 ]
	s_lshl_b64 s[0:1], s[22:23], 1
	s_wait_alu depctr_sa_sdst(0)
	v_add_co_u32 v0, vcc_lo, v0, s0
	s_wait_alu depctr_va_vcc(0)
	v_add_co_ci_u32_e64 v1, null, s1, v1, vcc_lo
	.loc	1 102 21                        ; attention_bwd.py:102:21 @[ attention_bwd.py:253:40 ]
	global_load_u16 v50, v[0:1], off
.LBB0_97:
	.loc	1 0 21 is_stmt 0                ; attention_bwd.py:0:21
	v_readlane_b32 s0, v253, 5
	v_readlane_b32 s1, v253, 6
	v_dual_mov_b32 v52, 0 :: v_dual_mov_b32 v53, 0
	.loc	1 94 18 is_stmt 1               ; attention_bwd.py:94:18 @[ attention_bwd.py:253:40 ]
	s_wait_alu depctr_va_sdst(0)
	s_delay_alu instid0(VALU_DEP_3)
	v_add_co_u32 v4, vcc_lo, s0, v205
	s_wait_alu depctr_va_vcc(0)
	v_add_co_ci_u32_e64 v5, null, s1, v206, vcc_lo
	.loc	1 103 21                        ; attention_bwd.py:103:21 @[ attention_bwd.py:253:40 ]
	s_and_b32 vcc_lo, exec_lo, s2
	s_wait_alu depctr_sa_sdst(0)
	s_cbranch_vccz .LBB0_146
; %bb.98:
	s_and_b32 vcc_lo, exec_lo, s2
	s_wait_alu depctr_sa_sdst(0)
	s_cbranch_vccz .LBB0_147
.LBB0_99:
	.loc	1 0 21 is_stmt 0                ; attention_bwd.py:0:21
	v_dual_mov_b32 v54, 0 :: v_dual_mov_b32 v55, 0
	.loc	1 103 21                        ; attention_bwd.py:103:21 @[ attention_bwd.py:253:40 ]
	s_and_b32 vcc_lo, exec_lo, s2
	s_wait_alu depctr_sa_sdst(0)
	s_cbranch_vccz .LBB0_148
.LBB0_100:
	s_and_b32 vcc_lo, exec_lo, s2
	s_wait_alu depctr_sa_sdst(0)
	s_cbranch_vccz .LBB0_149
.LBB0_101:
	.loc	1 0 21                          ; attention_bwd.py:0:21
	v_dual_mov_b32 v116, 0 :: v_dual_mov_b32 v117, 0
	.loc	1 103 21                        ; attention_bwd.py:103:21 @[ attention_bwd.py:253:40 ]
	s_and_b32 vcc_lo, exec_lo, s2
	s_wait_alu depctr_sa_sdst(0)
	s_cbranch_vccz .LBB0_150
.LBB0_102:
	s_and_b32 vcc_lo, exec_lo, s2
	s_wait_alu depctr_sa_sdst(0)
	s_cbranch_vccz .LBB0_151
.LBB0_103:
	.loc	1 0 21                          ; attention_bwd.py:0:21
	v_dual_mov_b32 v118, 0 :: v_dual_mov_b32 v119, 0
	.loc	1 103 21                        ; attention_bwd.py:103:21 @[ attention_bwd.py:253:40 ]
	s_and_b32 vcc_lo, exec_lo, s2
	s_wait_alu depctr_sa_sdst(0)
	s_cbranch_vccz .LBB0_152
.LBB0_104:
	s_and_b32 vcc_lo, exec_lo, s2
	s_wait_alu depctr_sa_sdst(0)
	s_cbranch_vccnz .LBB0_106
.LBB0_105:
	.loc	1 94 49 is_stmt 1               ; attention_bwd.py:94:49 @[ attention_bwd.py:253:40 ]
	s_lshl_b64 s[0:1], s[10:11], 1
	s_wait_alu depctr_sa_sdst(0)
	v_add_co_u32 v0, vcc_lo, v4, s0
	s_wait_alu depctr_va_vcc(0)
	v_add_co_ci_u32_e64 v1, null, s1, v5, vcc_lo
	.loc	1 103 21                        ; attention_bwd.py:103:21 @[ attention_bwd.py:253:40 ]
	global_load_u16 v118, v[0:1], off
.LBB0_106:
	.loc	1 0 21 is_stmt 0                ; attention_bwd.py:0:21
	v_dual_mov_b32 v120, 0 :: v_dual_mov_b32 v121, 0
	.loc	1 103 21                        ; attention_bwd.py:103:21 @[ attention_bwd.py:253:40 ]
	s_and_b32 vcc_lo, exec_lo, s2
	s_lshr_b32 s0, s104, 1
	s_wait_alu depctr_sa_sdst(0)
	s_cbranch_vccnz .LBB0_108
; %bb.107:
	.loc	1 94 49 is_stmt 1               ; attention_bwd.py:94:49 @[ attention_bwd.py:253:40 ]
	s_lshl_b64 s[4:5], s[14:15], 1
	s_wait_alu depctr_sa_sdst(0)
	v_add_co_u32 v0, vcc_lo, v4, s4
	s_wait_alu depctr_va_vcc(0)
	v_add_co_ci_u32_e64 v1, null, s5, v5, vcc_lo
	.loc	1 103 21                        ; attention_bwd.py:103:21 @[ attention_bwd.py:253:40 ]
	global_load_u16 v121, v[0:1], off
.LBB0_108:
	.loc	1 0 21 is_stmt 0                ; attention_bwd.py:0:21
	v_or3_b32 v0, v143, s0, s3
	.loc	1 103 21                        ; attention_bwd.py:103:21 @[ attention_bwd.py:253:40 ]
	s_and_b32 vcc_lo, exec_lo, s2
	s_wait_alu depctr_sa_sdst(0)
	s_cbranch_vccnz .LBB0_110
; %bb.109:
	.loc	1 94 49 is_stmt 1               ; attention_bwd.py:94:49 @[ attention_bwd.py:253:40 ]
	s_lshl_b64 s[0:1], s[16:17], 1
	s_wait_alu depctr_sa_sdst(0)
	v_add_co_u32 v1, vcc_lo, v4, s0
	s_wait_alu depctr_va_vcc(0)
	v_add_co_ci_u32_e64 v2, null, s1, v5, vcc_lo
	.loc	1 103 21                        ; attention_bwd.py:103:21 @[ attention_bwd.py:253:40 ]
	global_load_u16 v120, v[1:2], off
.LBB0_110:
	.loc	1 0 21 is_stmt 0                ; attention_bwd.py:0:21
	s_delay_alu instid0(VALU_DEP_1)
	v_ashrrev_i32_e32 v1, 31, v0
	v_dual_mov_b32 v122, 0 :: v_dual_mov_b32 v123, 0
	.loc	1 103 21                        ; attention_bwd.py:103:21 @[ attention_bwd.py:253:40 ]
	s_and_b32 vcc_lo, exec_lo, s2
	s_wait_alu depctr_sa_sdst(0)
	s_cbranch_vccnz .LBB0_112
; %bb.111:
	.loc	1 94 49 is_stmt 1               ; attention_bwd.py:94:49 @[ attention_bwd.py:253:40 ]
	s_lshl_b64 s[0:1], s[18:19], 1
	s_wait_alu depctr_sa_sdst(0)
	v_add_co_u32 v2, vcc_lo, v4, s0
	s_wait_alu depctr_va_vcc(0)
	v_add_co_ci_u32_e64 v3, null, s1, v5, vcc_lo
	.loc	1 103 21                        ; attention_bwd.py:103:21 @[ attention_bwd.py:253:40 ]
	global_load_u16 v123, v[2:3], off
.LBB0_112:
	s_and_b32 vcc_lo, exec_lo, s2
	s_wait_alu depctr_sa_sdst(0)
	s_cbranch_vccnz .LBB0_114
; %bb.113:
	.loc	1 94 49                         ; attention_bwd.py:94:49 @[ attention_bwd.py:253:40 ]
	s_lshl_b64 s[0:1], s[52:53], 1
	s_wait_alu depctr_sa_sdst(0)
	v_add_co_u32 v2, vcc_lo, v4, s0
	s_wait_alu depctr_va_vcc(0)
	v_add_co_ci_u32_e64 v3, null, s1, v5, vcc_lo
	.loc	1 103 21                        ; attention_bwd.py:103:21 @[ attention_bwd.py:253:40 ]
	global_load_u16 v122, v[2:3], off
.LBB0_114:
	.loc	1 0 21 is_stmt 0                ; attention_bwd.py:0:21
	v_lshlrev_b64_e32 v[0:1], 2, v[0:1]
	v_dual_mov_b32 v124, 0 :: v_dual_mov_b32 v125, 0
	.loc	1 103 21                        ; attention_bwd.py:103:21 @[ attention_bwd.py:253:40 ]
	s_and_b32 vcc_lo, exec_lo, s2
	s_wait_alu depctr_sa_sdst(0)
	s_cbranch_vccnz .LBB0_116
; %bb.115:
	.loc	1 94 49 is_stmt 1               ; attention_bwd.py:94:49 @[ attention_bwd.py:253:40 ]
	s_lshl_b64 s[0:1], s[62:63], 1
	s_wait_alu depctr_sa_sdst(0)
	v_add_co_u32 v2, vcc_lo, v4, s0
	s_wait_alu depctr_va_vcc(0)
	v_add_co_ci_u32_e64 v3, null, s1, v5, vcc_lo
	.loc	1 103 21                        ; attention_bwd.py:103:21 @[ attention_bwd.py:253:40 ]
	global_load_u16 v125, v[2:3], off
.LBB0_116:
	s_and_b32 vcc_lo, exec_lo, s2
	s_wait_alu depctr_sa_sdst(0)
	s_cbranch_vccnz .LBB0_118
; %bb.117:
	.loc	1 94 49                         ; attention_bwd.py:94:49 @[ attention_bwd.py:253:40 ]
	s_lshl_b64 s[0:1], s[78:79], 1
	s_wait_alu depctr_sa_sdst(0)
	v_add_co_u32 v2, vcc_lo, v4, s0
	s_wait_alu depctr_va_vcc(0)
	v_add_co_ci_u32_e64 v3, null, s1, v5, vcc_lo
	.loc	1 103 21                        ; attention_bwd.py:103:21 @[ attention_bwd.py:253:40 ]
	global_load_u16 v124, v[2:3], off
.LBB0_118:
	.loc	1 0 21 is_stmt 0                ; attention_bwd.py:0:21
	v_readlane_b32 s0, v253, 19
	v_readlane_b32 s1, v253, 20
	v_dual_mov_b32 v126, 0 :: v_dual_mov_b32 v127, 0
	s_wait_alu depctr_va_sdst(0)
	s_delay_alu instid0(VALU_DEP_3)
	v_add_co_u32 v2, vcc_lo, s0, v0
	s_wait_alu depctr_va_vcc(0)
	v_add_co_ci_u32_e64 v3, null, s1, v1, vcc_lo
	.loc	1 103 21                        ; attention_bwd.py:103:21 @[ attention_bwd.py:253:40 ]
	s_and_b32 vcc_lo, exec_lo, s2
	s_wait_alu depctr_sa_sdst(0)
	s_cbranch_vccnz .LBB0_120
; %bb.119:
	.loc	1 94 49 is_stmt 1               ; attention_bwd.py:94:49 @[ attention_bwd.py:253:40 ]
	s_lshl_b64 s[0:1], s[90:91], 1
	s_wait_alu depctr_sa_sdst(0)
	v_add_co_u32 v6, vcc_lo, v4, s0
	s_wait_alu depctr_va_vcc(0)
	v_add_co_ci_u32_e64 v7, null, s1, v5, vcc_lo
	.loc	1 103 21                        ; attention_bwd.py:103:21 @[ attention_bwd.py:253:40 ]
	global_load_u16 v127, v[6:7], off
.LBB0_120:
	s_and_b32 vcc_lo, exec_lo, s2
	s_wait_alu depctr_sa_sdst(0)
	s_cbranch_vccnz .LBB0_122
; %bb.121:
	.loc	1 94 49                         ; attention_bwd.py:94:49 @[ attention_bwd.py:253:40 ]
	s_lshl_b64 s[0:1], s[22:23], 1
	s_wait_alu depctr_sa_sdst(0)
	v_add_co_u32 v4, vcc_lo, v4, s0
	s_wait_alu depctr_va_vcc(0)
	v_add_co_ci_u32_e64 v5, null, s1, v5, vcc_lo
	.loc	1 103 21                        ; attention_bwd.py:103:21 @[ attention_bwd.py:253:40 ]
	global_load_u16 v126, v[4:5], off
.LBB0_122:
	.loc	1 0 21 is_stmt 0                ; attention_bwd.py:0:21
	v_readlane_b32 s0, v253, 21
	v_readlane_b32 s1, v253, 22
	ds_load_b128 v[145:148], v128
	ds_load_b128 v[170:173], v57
	;; [unrolled: 1-line block ×8, first 2 shown]
	v_mov_b32_e32 v15, 0
	.loc	1 96 21 is_stmt 1               ; attention_bwd.py:96:21 @[ attention_bwd.py:253:40 ]
	s_wait_alu depctr_va_sdst(0)
	v_add_co_u32 v0, vcc_lo, s0, v0
	s_wait_alu depctr_va_vcc(0)
	v_add_co_ci_u32_e64 v1, null, s1, v1, vcc_lo
	v_dual_mov_b32 v14, v15 :: v_dual_mov_b32 v13, v15
	global_load_b32 v183, v[2:3], off
	.loc	1 96 17 is_stmt 0               ; attention_bwd.py:96:17 @[ attention_bwd.py:253:40 ]
	global_load_b32 v182, v[0:1], off
	v_dual_mov_b32 v12, v15 :: v_dual_mov_b32 v11, v15
	v_dual_mov_b32 v10, v15 :: v_dual_mov_b32 v9, v15
	;; [unrolled: 1-line block ×14, first 2 shown]
	v_mov_b32_e32 v0, v15
	.loc	1 101 25 is_stmt 1              ; attention_bwd.py:101:25 @[ attention_bwd.py:253:40 ]
	s_and_not1_b32 vcc_lo, exec_lo, vcc_hi
	.loc	1 102 21                        ; attention_bwd.py:102:21 @[ attention_bwd.py:253:40 ]
	s_wait_loadcnt_dscnt 0x0
	s_barrier_signal -1
	s_barrier_wait -1
	global_inv scope:SCOPE_SE
	ds_store_b16 v184, v37
	ds_store_b16 v184, v32 offset:512
	ds_store_b16 v184, v39 offset:1024
	;; [unrolled: 1-line block ×15, first 2 shown]
	.loc	1 103 21                        ; attention_bwd.py:103:21 @[ attention_bwd.py:253:40 ]
	ds_store_b16 v184, v53 offset:8192
	ds_store_b16 v184, v52 offset:8704
	;; [unrolled: 1-line block ×16, first 2 shown]
	.loc	1 101 25                        ; attention_bwd.py:101:25 @[ attention_bwd.py:253:40 ]
	s_wait_alu depctr_sa_sdst(0)
	s_cbranch_vccnz .LBB0_126
; %bb.123:                              ; %.lr.ph329
	.loc	1 0 25 is_stmt 0                ; attention_bwd.py:0:25
	s_clause 0x1c                           ; 360-byte Folded Spill
	scratch_store_b128 off, v[220:223], off offset:384
	scratch_store_b128 off, v[76:79], off offset:352
	;; [unrolled: 1-line block ×16, first 2 shown]
	scratch_store_b64 off, v[210:211], off offset:760
	scratch_store_b64 off, v[208:209], off offset:744
	;; [unrolled: 1-line block ×13, first 2 shown]
	s_clause 0xd                            ; 224-byte Folded Reload
	scratch_load_b128 v[100:103], off, off offset:288
	scratch_load_b128 v[96:99], off, off offset:304
	;; [unrolled: 1-line block ×14, first 2 shown]
	v_readlane_b32 s0, v255, 15
	v_readlane_b32 s1, v255, 16
	.loc	1 101 25                        ; attention_bwd.py:101:25 @[ attention_bwd.py:253:40 ]
	s_lshl_b64 s[4:5], s[22:23], 1
	v_readlane_b32 s20, v252, 3
	v_readlane_b32 s21, v252, 4
	s_ashr_i32 s1, s0, 31
	s_max_i32 s3, s33, 1
	s_wait_alu depctr_sa_sdst(0)
	s_lshl_b64 s[0:1], s[0:1], 1
	v_mov_b32_e32 v54, v161
	s_wait_alu depctr_sa_sdst(0)
	s_add_nc_u64 s[4:5], s[0:1], s[4:5]
	s_wait_alu depctr_sa_sdst(0)
	v_add_co_u32 v0, vcc_lo, s4, v205
	s_wait_alu depctr_va_vcc(0)
	v_add_co_ci_u32_e64 v1, null, s5, v206, vcc_lo
	s_lshl_b64 s[4:5], s[90:91], 1
	v_add_co_u32 v32, vcc_lo, s20, v0
	s_wait_alu depctr_sa_sdst(0)
	s_add_nc_u64 s[4:5], s[0:1], s[4:5]
	s_wait_alu depctr_va_vcc(0)
	v_add_co_ci_u32_e64 v53, null, s21, v1, vcc_lo
	s_wait_alu depctr_sa_sdst(0)
	v_add_co_u32 v2, vcc_lo, s4, v205
	s_wait_alu depctr_va_vcc(0)
	v_add_co_ci_u32_e64 v3, null, s5, v206, vcc_lo
	s_lshl_b64 s[4:5], s[78:79], 1
	v_add_co_u32 v55, vcc_lo, s20, v2
	s_wait_alu depctr_sa_sdst(0)
	s_add_nc_u64 s[4:5], s[0:1], s[4:5]
	s_wait_alu depctr_va_vcc(0)
	v_add_co_ci_u32_e64 v149, null, s21, v3, vcc_lo
	;; [unrolled: 10-line block ×14, first 2 shown]
	s_lshl_b64 s[8:9], s[6:7], 1
	s_wait_alu depctr_sa_sdst(0)
	v_add_co_u32 v28, vcc_lo, s4, v205
	s_wait_alu depctr_va_vcc(0)
	v_add_co_ci_u32_e64 v29, null, s5, v206, vcc_lo
	s_add_nc_u64 s[4:5], s[0:1], s[8:9]
	s_wait_alu depctr_sa_sdst(0)
	v_add_co_u32 v30, vcc_lo, s4, v205
	s_wait_alu depctr_va_vcc(0)
	v_add_co_ci_u32_e64 v31, null, s5, v206, vcc_lo
	v_readlane_b32 s4, v253, 23
	v_readlane_b32 s6, v253, 25
	v_add_co_u32 v232, vcc_lo, s20, v28
	v_readlane_b32 s7, v253, 26
	s_wait_alu depctr_va_vcc(0)
	v_add_co_ci_u32_e64 v233, null, s21, v29, vcc_lo
	v_add_co_u32 v234, vcc_lo, s20, v30
	s_wait_alu depctr_va_vcc(0)
	v_add_co_ci_u32_e64 v235, null, s21, v31, vcc_lo
	s_wait_alu depctr_va_sdst(0)
	v_add_co_u32 v35, vcc_lo, s6, v0
	s_wait_alu depctr_va_vcc(0)
	v_add_co_ci_u32_e64 v36, null, s7, v1, vcc_lo
	v_add_co_u32 v37, vcc_lo, s6, v2
	s_wait_alu depctr_va_vcc(0)
	v_add_co_ci_u32_e64 v236, null, s7, v3, vcc_lo
	;; [unrolled: 3-line block ×13, first 2 shown]
	v_add_co_u32 v139, vcc_lo, s6, v26
	v_mov_b32_e32 v0, 0
	s_wait_alu depctr_va_vcc(0)
	v_add_co_ci_u32_e64 v140, null, s7, v27, vcc_lo
	v_add_co_u32 v141, vcc_lo, s6, v28
	s_wait_alu depctr_va_vcc(0)
	v_add_co_ci_u32_e64 v142, null, s7, v29, vcc_lo
	v_add_co_u32 v143, vcc_lo, s6, v30
	s_wait_alu depctr_va_vcc(0)
	v_add_co_ci_u32_e64 v144, null, s7, v31, vcc_lo
	v_dual_mov_b32 v1, v0 :: v_dual_mov_b32 v2, v0
	v_dual_mov_b32 v3, v0 :: v_dual_mov_b32 v4, v0
	;; [unrolled: 1-line block ×15, first 2 shown]
	v_mov_b32_e32 v15, v0
	v_readlane_b32 s5, v253, 24
.LBB0_124:                              ; =>This Inner Loop Header: Depth=1
	.loc	1 120 19 is_stmt 1              ; attention_bwd.py:120:19 @[ attention_bwd.py:253:40 ]
	v_add_co_u32 v33, vcc_lo, v143, s12
	s_wait_alu depctr_va_vcc(0)
	v_add_co_ci_u32_e64 v34, null, s13, v144, vcc_lo
	s_clause 0x2                            ; 12-byte Folded Spill
	scratch_store_b32 off, v37, off offset:64
	scratch_store_b32 off, v36, off offset:32
	scratch_store_b32 off, v35, off
	v_mov_b32_e32 v201, v55
	v_mov_b32_e32 v55, v32
	.loc	1 102 21                        ; attention_bwd.py:102:21 @[ attention_bwd.py:253:40 ]
	global_load_u16 v33, v[33:34], off
	v_dual_mov_b32 v32, v204 :: v_dual_mov_b32 v223, v185
	v_mov_b32_e32 v185, v53
	v_mov_b32_e32 v53, v207
	v_dual_mov_b32 v181, v180 :: v_dual_mov_b32 v222, v177
	v_mov_b32_e32 v177, v151
	v_mov_b32_e32 v221, v152
	v_dual_mov_b32 v155, v154 :: v_dual_mov_b32 v154, v153
	v_mov_b32_e32 v153, v156
	.loc	1 101 25                        ; attention_bwd.py:101:25 @[ attention_bwd.py:253:40 ]
	s_add_co_i32 s3, s3, -1
	v_mov_b32_e32 v220, v160
	v_mov_b32_e32 v160, v149
	;; [unrolled: 1-line block ×4, first 2 shown]
	s_wait_alu depctr_sa_sdst(0)
	s_cmp_lg_u32 s3, 0
	.loc	1 120 19                        ; attention_bwd.py:120:19 @[ attention_bwd.py:253:40 ]
	s_wait_loadcnt 0x0
	scratch_store_b32 off, v33, off offset:96 ; 4-byte Folded Spill
	v_add_co_u32 v33, vcc_lo, v141, s12
	s_wait_alu depctr_va_vcc(0)
	v_add_co_ci_u32_e64 v34, null, s13, v142, vcc_lo
	.loc	1 102 21                        ; attention_bwd.py:102:21 @[ attention_bwd.py:253:40 ]
	global_load_u16 v33, v[33:34], off
	.loc	1 120 19                        ; attention_bwd.py:120:19 @[ attention_bwd.py:253:40 ]
	s_wait_loadcnt 0x0
	scratch_store_b32 off, v33, off offset:128 ; 4-byte Folded Spill
	v_add_co_u32 v33, vcc_lo, v139, s12
	s_wait_alu depctr_va_vcc(0)
	v_add_co_ci_u32_e64 v34, null, s13, v140, vcc_lo
	.loc	1 102 21                        ; attention_bwd.py:102:21 @[ attention_bwd.py:253:40 ]
	global_load_u16 v33, v[33:34], off
	;; [unrolled: 8-line block ×15, first 2 shown]
	.loc	1 117 25                        ; attention_bwd.py:117:25 @[ attention_bwd.py:253:40 ]
	s_wait_loadcnt 0x0
	scratch_store_b32 off, v33, off offset:220 ; 4-byte Folded Spill
	s_wait_storecnt_dscnt 0x0
	s_barrier_signal -1
	s_barrier_wait -1
	global_inv scope:SCOPE_SE
	.loc	1 102 21                        ; attention_bwd.py:102:21 @[ attention_bwd.py:253:40 ]
	ds_load_u16 v38, v187 offset:128
	ds_load_u16 v37, v187
	ds_load_u16 v39, v187 offset:256
	ds_load_u16 v40, v187 offset:384
	;; [unrolled: 1-line block ×13, first 2 shown]
	s_wait_dscnt 0x1
	ds_load_u16_d16_hi v42, v187 offset:1216
	s_wait_dscnt 0x1
	ds_load_u16_d16_hi v49, v187 offset:1120
	ds_load_u16 v119, v187 offset:416
	ds_load_u16 v116, v187 offset:32
	ds_load_u16_d16_hi v38, v187 offset:192
	ds_load_u16_d16_hi v37, v187 offset:64
	ds_load_u16 v118, v187 offset:288
	ds_load_u16 v117, v187 offset:160
	ds_load_u16_d16_hi v39, v187 offset:320
	ds_load_u16_d16_hi v40, v187 offset:448
	;; [unrolled: 1-line block ×3, first 2 shown]
	ds_load_u16 v50, v187 offset:1184
	ds_load_u16_d16_hi v47, v187 offset:2400
	ds_load_u16_d16_hi v43, v187 offset:1344
	;; [unrolled: 1-line block ×3, first 2 shown]
	ds_load_u16 v51, v187 offset:1312
	ds_load_u16 v45, v187 offset:2080
	;; [unrolled: 1-line block ×4, first 2 shown]
	ds_load_u16_d16_hi v120, v187 offset:2112
	ds_load_u16_d16_hi v121, v187 offset:2240
	;; [unrolled: 1-line block ×3, first 2 shown]
	s_wait_dscnt 0x3
	ds_load_u16_d16_hi v123, v187 offset:2496
	ds_load_u16 v48, v187 offset:2464
	ds_load_u16_d16_hi v46, v187 offset:2272
	ds_load_u16_d16_hi v50, v187 offset:1248
	;; [unrolled: 1-line block ×5, first 2 shown]
	.loc	1 104 23                        ; attention_bwd.py:104:23 @[ attention_bwd.py:253:40 ]
	v_wmma_f32_16x16x16_f16 v[161:168], v[37:40], v[100:103], 0
	.loc	1 102 21                        ; attention_bwd.py:102:21 @[ attention_bwd.py:253:40 ]
	ds_load_u16 v126, v187 offset:3328
	ds_load_u16 v127, v187 offset:3456
	;; [unrolled: 1-line block ×8, first 2 shown]
	s_clause 0x1                            ; 32-byte Folded Reload
	scratch_load_b128 v[149:152], off, off offset:448
	scratch_load_b128 v[156:159], off, off offset:464
	.loc	1 104 23                        ; attention_bwd.py:104:23 @[ attention_bwd.py:253:40 ]
	v_wmma_f32_16x16x16_f16 v[161:168], v[41:44], v[96:99], v[161:168]
	.loc	1 102 21                        ; attention_bwd.py:102:21 @[ attention_bwd.py:253:40 ]
	s_wait_dscnt 0x3
	ds_load_u16_d16_hi v37, v187 offset:4192
	ds_load_u16 v125, v187 offset:3200
	ds_load_u16_d16_hi v124, v187 offset:3136
	ds_load_u16_d16_hi v126, v187 offset:3392
	ds_load_u16_d16_hi v127, v187 offset:3520
	ds_load_u16 v38, v187 offset:4256
	ds_load_u16 v44, v187 offset:3488
	;; [unrolled: 1-line block ×5, first 2 shown]
	s_wait_dscnt 0x8
	ds_load_u16_d16_hi v125, v187 offset:3264
	s_wait_dscnt 0x4
	ds_load_u16_d16_hi v44, v187 offset:3552
	;; [unrolled: 2-line block ×5, first 2 shown]
	.loc	1 104 23                        ; attention_bwd.py:104:23 @[ attention_bwd.py:253:40 ]
	v_wmma_f32_16x16x16_f16 v[161:168], v[120:123], v[92:95], v[161:168]
	.loc	1 103 21                        ; attention_bwd.py:103:21 @[ attention_bwd.py:253:40 ]
	ds_load_u16 v198, v187 offset:10528
	.loc	1 102 21                        ; attention_bwd.py:102:21 @[ attention_bwd.py:253:40 ]
	ds_load_u16_d16_hi v48, v187 offset:2528
	ds_load_u16_d16_hi v119, v187 offset:480
	;; [unrolled: 1-line block ×5, first 2 shown]
	.loc	1 104 23                        ; attention_bwd.py:104:23 @[ attention_bwd.py:253:40 ]
	s_wait_dscnt 0xa
	v_wmma_f32_16x16x16_f16 v[161:168], v[124:127], v[88:91], v[161:168]
	.loc	1 102 21                        ; attention_bwd.py:102:21 @[ attention_bwd.py:253:40 ]
	ds_load_u16 v129, v187 offset:4224
	ds_load_u16 v131, v187 offset:4480
	;; [unrolled: 1-line block ×8, first 2 shown]
	ds_load_u16_d16_hi v128, v187 offset:4160
	s_wait_dscnt 0x8
	ds_load_u16_d16_hi v129, v187 offset:4288
	s_wait_dscnt 0x3
	ds_load_u16_d16_hi v122, v187 offset:5472
	ds_load_u16_d16_hi v130, v187 offset:4416
	;; [unrolled: 1-line block ×3, first 2 shown]
	ds_load_u16 v39, v187 offset:4384
	ds_load_u16 v120, v187 offset:5152
	;; [unrolled: 1-line block ×4, first 2 shown]
	ds_load_u16_d16_hi v124, v187 offset:5184
	ds_load_u16_d16_hi v125, v187 offset:5312
	;; [unrolled: 1-line block ×3, first 2 shown]
	s_wait_dscnt 0x3
	ds_load_u16_d16_hi v127, v187 offset:5568
	ds_load_u16 v123, v187 offset:5536
	ds_load_u16_d16_hi v121, v187 offset:5344
	ds_load_u16_d16_hi v38, v187 offset:4320
	;; [unrolled: 1-line block ×5, first 2 shown]
	.loc	1 104 23                        ; attention_bwd.py:104:23 @[ attention_bwd.py:253:40 ]
	v_wmma_f32_16x16x16_f16 v[161:168], v[128:131], v[84:87], v[161:168]
	s_wait_dscnt 0x6
	s_delay_alu instid0(VALU_DEP_1)
	v_wmma_f32_16x16x16_f16 v[161:168], v[124:127], v[80:83], v[161:168]
	.loc	1 102 21                        ; attention_bwd.py:102:21 @[ attention_bwd.py:253:40 ]
	ds_load_u16 v204, v187 offset:7424
	ds_load_u16 v124, v187 offset:7200
	s_wait_dscnt 0x0
	ds_load_u16_d16_hi v124, v187 offset:7264
	ds_load_u16 v170, v187 offset:6272
	ds_load_u16_d16_hi v169, v187 offset:6208
	ds_load_u16_d16_hi v171, v187 offset:6464
	;; [unrolled: 1-line block ×3, first 2 shown]
	ds_load_u16 v125, v187 offset:7328
	ds_load_u16 v131, v187 offset:6560
	;; [unrolled: 1-line block ×5, first 2 shown]
	s_wait_dscnt 0x8
	ds_load_u16_d16_hi v170, v187 offset:6336
	s_wait_dscnt 0x4
	ds_load_u16_d16_hi v131, v187 offset:6624
	s_wait_dscnt 0x4
	ds_load_u16_d16_hi v128, v187 offset:6240
	s_wait_dscnt 0x4
	ds_load_u16_d16_hi v130, v187 offset:6496
	s_wait_dscnt 0x4
	ds_load_u16_d16_hi v129, v187 offset:6368
	ds_load_u16_d16_hi v123, v187 offset:5600
	.loc	1 104 23                        ; attention_bwd.py:104:23 @[ attention_bwd.py:253:40 ]
	s_wait_dscnt 0x5
	v_wmma_f32_16x16x16_f16 v[161:168], v[169:172], v[76:79], v[161:168]
	.loc	1 102 21                        ; attention_bwd.py:102:21 @[ attention_bwd.py:253:40 ]
	ds_load_u16 v203, v187 offset:7296
	ds_load_u16 v205, v187 offset:7552
	.loc	1 103 21                        ; attention_bwd.py:103:21 @[ attention_bwd.py:253:40 ]
	ds_load_u16 v169, v187 offset:9216
	ds_load_u16 v208, v187 offset:8480
	;; [unrolled: 1-line block ×3, first 2 shown]
	.loc	1 102 21                        ; attention_bwd.py:102:21 @[ attention_bwd.py:253:40 ]
	ds_load_u16_d16_hi v202, v187 offset:7232
	s_wait_dscnt 0x5
	ds_load_u16_d16_hi v203, v187 offset:7360
	.loc	1 103 21                        ; attention_bwd.py:103:21 @[ attention_bwd.py:253:40 ]
	s_wait_dscnt 0x3
	ds_load_u16_d16_hi v208, v187 offset:8544
	ds_load_u16 v194, v187 offset:8448
	ds_load_u16 v192, v187 offset:8192
	.loc	1 102 21                        ; attention_bwd.py:102:21 @[ attention_bwd.py:253:40 ]
	ds_load_u16_d16_hi v204, v187 offset:7488
	ds_load_u16_d16_hi v205, v187 offset:7616
	ds_load_u16 v126, v187 offset:7456
	.loc	1 103 21                        ; attention_bwd.py:103:21 @[ attention_bwd.py:253:40 ]
	ds_load_u16 v206, v187 offset:8224
	.loc	1 102 21                        ; attention_bwd.py:102:21 @[ attention_bwd.py:253:40 ]
	ds_load_u16 v127, v187 offset:7584
	ds_load_u16_d16_hi v125, v187 offset:7392
	s_wait_dscnt 0x3
	ds_load_u16_d16_hi v126, v187 offset:7520
	s_wait_dscnt 0x2
	ds_load_u16_d16_hi v127, v187 offset:7648
	.loc	1 104 23                        ; attention_bwd.py:104:23 @[ attention_bwd.py:253:40 ]
	v_wmma_f32_16x16x16_f16 v[161:168], v[202:205], v[72:75], v[161:168]
	.loc	1 103 21                        ; attention_bwd.py:103:21 @[ attention_bwd.py:253:40 ]
	ds_load_u16 v193, v187 offset:8320
	ds_load_u16 v195, v187 offset:8576
	;; [unrolled: 1-line block ×7, first 2 shown]
	s_wait_dscnt 0x0
	ds_load_u16_d16_hi v196, v187 offset:10336
	ds_load_u16 v170, v187 offset:9344
	ds_load_u16_d16_hi v169, v187 offset:9280
	ds_load_u16 v36, v187 offset:9632
	ds_load_u16 v33, v187 offset:9248
	ds_load_u16_d16_hi v193, v187 offset:8384
	ds_load_u16_d16_hi v194, v187 offset:8512
	ds_load_u16_d16_hi v195, v187 offset:8640
	ds_load_u16 v209, v187 offset:8608
	ds_load_u16_d16_hi v207, v187 offset:8416
	ds_load_u16_d16_hi v171, v187 offset:9536
	;; [unrolled: 1-line block ×3, first 2 shown]
	ds_load_u16 v197, v187 offset:10400
	ds_load_u16 v35, v187 offset:9504
	;; [unrolled: 1-line block ×3, first 2 shown]
	ds_load_u16_d16_hi v192, v187 offset:8256
	.loc	1 105 30                        ; attention_bwd.py:105:30 @[ attention_bwd.py:253:40 ]
	v_sub_f32_e32 v179, v163, v183
	v_sub_f32_e32 v173, v164, v183
	;; [unrolled: 1-line block ×3, first 2 shown]
	.loc	1 103 21                        ; attention_bwd.py:103:21 @[ attention_bwd.py:253:40 ]
	s_wait_dscnt 0xe
	ds_load_u16_d16_hi v170, v187 offset:9408
	ds_load_u16_d16_hi v206, v187 offset:8288
	s_wait_dscnt 0x9
	ds_load_u16_d16_hi v209, v187 offset:8672
	ds_load_u16_d16_hi v33, v187 offset:9312
	;; [unrolled: 1-line block ×3, first 2 shown]
	s_wait_dscnt 0x7
	ds_load_u16_d16_hi v35, v187 offset:9568
	s_wait_dscnt 0x7
	ds_load_u16_d16_hi v34, v187 offset:9440
	.loc	1 105 30                        ; attention_bwd.py:105:30 @[ attention_bwd.py:253:40 ]
	v_sub_f32_e32 v175, v161, v183
	v_sub_f32_e32 v178, v162, v183
	;; [unrolled: 1-line block ×5, first 2 shown]
	.loc	1 112 24                        ; attention_bwd.py:112:24 @[ attention_bwd.py:253:40 ]
	s_wait_dscnt 0x7
	v_wmma_f32_16x16x16_f16 v[161:168], v[192:195], v[145:148], 0
	s_wait_dscnt 0x6
	s_delay_alu instid0(VALU_DEP_1)
	v_wmma_f32_16x16x16_f16 v[161:168], v[169:172], v[188:191], v[161:168]
	.loc	1 103 21                        ; attention_bwd.py:103:21 @[ attention_bwd.py:253:40 ]
	ds_load_u16 v203, v187 offset:10368
	ds_load_u16 v205, v187 offset:10624
	;; [unrolled: 1-line block ×8, first 2 shown]
	ds_load_u16_d16_hi v202, v187 offset:10304
	s_wait_dscnt 0x8
	ds_load_u16_d16_hi v203, v187 offset:10432
	s_wait_dscnt 0x3
	ds_load_u16_d16_hi v58, v187 offset:11616
	ds_load_u16_d16_hi v204, v187 offset:10560
	ds_load_u16_d16_hi v205, v187 offset:10688
	ds_load_u16 v56, v187 offset:11296
	ds_load_u16 v199, v187 offset:10656
	;; [unrolled: 1-line block ×3, first 2 shown]
	ds_load_u16_d16_hi v169, v187 offset:11328
	ds_load_u16_d16_hi v170, v187 offset:11456
	;; [unrolled: 1-line block ×3, first 2 shown]
	s_wait_dscnt 0x3
	ds_load_u16_d16_hi v172, v187 offset:11712
	ds_load_u16 v59, v187 offset:11680
	ds_load_u16_d16_hi v57, v187 offset:11488
	ds_load_u16_d16_hi v197, v187 offset:10464
	;; [unrolled: 1-line block ×5, first 2 shown]
	.loc	1 112 24                        ; attention_bwd.py:112:24 @[ attention_bwd.py:253:40 ]
	v_wmma_f32_16x16x16_f16 v[161:168], v[202:205], v[212:215], v[161:168]
	.loc	1 103 21                        ; attention_bwd.py:103:21 @[ attention_bwd.py:253:40 ]
	s_wait_dscnt 0x5
	ds_load_u16_d16_hi v59, v187 offset:11744
	.loc	1 112 24                        ; attention_bwd.py:112:24 @[ attention_bwd.py:253:40 ]
	s_wait_loadcnt 0x1
	v_wmma_f32_16x16x16_f16 v[161:168], v[169:172], v[149:152], v[161:168]
	.loc	1 103 21                        ; attention_bwd.py:103:21 @[ attention_bwd.py:253:40 ]
	ds_load_u16 v194, v187 offset:12544
	ds_load_u16 v195, v187 offset:12672
	ds_load_u16 v169, v187 offset:13312
	ds_load_u16 v171, v187 offset:13568
	ds_load_u16 v202, v187 offset:13344
	s_wait_dscnt 0x0
	ds_load_u16_d16_hi v202, v187 offset:13408
	ds_load_u16 v193, v187 offset:12416
	ds_load_u16_d16_hi v192, v187 offset:12352
	ds_load_u16_d16_hi v194, v187 offset:12608
	;; [unrolled: 1-line block ×3, first 2 shown]
	ds_load_u16 v203, v187 offset:13472
	ds_load_u16 v63, v187 offset:12704
	;; [unrolled: 1-line block ×5, first 2 shown]
	s_wait_dscnt 0x8
	ds_load_u16_d16_hi v193, v187 offset:12480
	s_wait_dscnt 0x4
	ds_load_u16_d16_hi v63, v187 offset:12768
	;; [unrolled: 2-line block ×5, first 2 shown]
	.loc	1 112 24                        ; attention_bwd.py:112:24 @[ attention_bwd.py:253:40 ]
	s_wait_loadcnt_dscnt 0x4
	v_wmma_f32_16x16x16_f16 v[161:168], v[192:195], v[156:159], v[161:168]
	.loc	1 103 21                        ; attention_bwd.py:103:21 @[ attention_bwd.py:253:40 ]
	ds_load_u16 v170, v187 offset:13440
	ds_load_u16 v172, v187 offset:13696
	;; [unrolled: 1-line block ×8, first 2 shown]
	ds_load_u16_d16_hi v169, v187 offset:13376
	ds_load_u16 v195, v187 offset:14720
	s_wait_dscnt 0x7
	ds_load_u16_d16_hi v192, v187 offset:14400
	s_wait_dscnt 0x7
	ds_load_u16_d16_hi v193, v187 offset:14528
	s_wait_dscnt 0x7
	ds_load_u16_d16_hi v194, v187 offset:14656
	ds_load_u16 v67, v187 offset:15744
	ds_load_u16 v65, v187 offset:15488
	;; [unrolled: 1-line block ×3, first 2 shown]
	s_wait_dscnt 0xa
	ds_load_u16_d16_hi v64, v187 offset:15424
	ds_load_u16_d16_hi v170, v187 offset:13504
	s_wait_dscnt 0xb
	ds_load_u16_d16_hi v70, v187 offset:14688
	ds_load_u16_d16_hi v171, v187 offset:13632
	;; [unrolled: 1-line block ×3, first 2 shown]
	ds_load_u16 v68, v187 offset:14368
	ds_load_u16 v205, v187 offset:13728
	;; [unrolled: 1-line block ×3, first 2 shown]
	s_wait_dscnt 0xe
	ds_load_u16_d16_hi v195, v187 offset:14784
	ds_load_u16 v71, v187 offset:14752
	ds_load_u16_d16_hi v69, v187 offset:14560
	ds_load_u16_d16_hi v203, v187 offset:13536
	s_wait_dscnt 0x4
	ds_load_u16_d16_hi v204, v187 offset:13664
	ds_load_u16_d16_hi v68, v187 offset:14432
	;; [unrolled: 1-line block ×3, first 2 shown]
	.loc	1 112 24                        ; attention_bwd.py:112:24 @[ attention_bwd.py:253:40 ]
	v_wmma_f32_16x16x16_f16 v[161:168], v[169:172], v[112:115], v[161:168]
	.loc	1 103 21                        ; attention_bwd.py:103:21 @[ attention_bwd.py:253:40 ]
	ds_load_u16_d16_hi v65, v187 offset:15552
	ds_load_u16 v172, v187 offset:15776
	ds_load_u16 v171, v187 offset:15648
	;; [unrolled: 1-line block ×3, first 2 shown]
	ds_load_u16_d16_hi v66, v187 offset:15680
	ds_load_u16_d16_hi v67, v187 offset:15808
	s_wait_dscnt 0x4
	ds_load_u16_d16_hi v172, v187 offset:15840
	ds_load_u16 v169, v187 offset:15392
	s_wait_dscnt 0x5
	ds_load_u16_d16_hi v171, v187 offset:15712
	.loc	1 112 24                        ; attention_bwd.py:112:24 @[ attention_bwd.py:253:40 ]
	v_wmma_f32_16x16x16_f16 v[161:168], v[192:195], v[108:111], v[161:168]
	.loc	1 103 21                        ; attention_bwd.py:103:21 @[ attention_bwd.py:253:40 ]
	ds_load_u16_d16_hi v71, v187 offset:14816
	s_wait_dscnt 0x2
	ds_load_u16_d16_hi v169, v187 offset:15456
	ds_load_u16_d16_hi v170, v187 offset:15584
	.loc	1 112 24                        ; attention_bwd.py:112:24 @[ attention_bwd.py:253:40 ]
	v_wmma_f32_16x16x16_f16 v[161:168], v[64:67], v[104:107], v[161:168]
	s_delay_alu instid0(VALU_DEP_1) | instskip(NEXT) | instid1(VALU_DEP_2)
	.loc	1 113 23                        ; attention_bwd.py:113:23 @[ attention_bwd.py:253:40 ]
	v_sub_f32_e32 v64, v161, v182
	v_sub_f32_e32 v65, v162, v182
	s_delay_alu instid0(VALU_DEP_3) | instskip(NEXT) | instid1(VALU_DEP_4)
	v_sub_f32_e32 v66, v163, v182
	v_sub_f32_e32 v67, v164, v182
	;; [unrolled: 1-line block ×6, first 2 shown]
	.loc	1 104 23                        ; attention_bwd.py:104:23 @[ attention_bwd.py:253:40 ]
	v_wmma_f32_16x16x16_f16 v[161:168], v[116:119], v[100:103], 0
	s_delay_alu instid0(VALU_DEP_1) | instskip(NEXT) | instid1(VALU_DEP_1)
	v_wmma_f32_16x16x16_f16 v[161:168], v[49:52], v[96:99], v[161:168]
	v_wmma_f32_16x16x16_f16 v[161:168], v[45:48], v[92:95], v[161:168]
	s_delay_alu instid0(VALU_DEP_1) | instskip(NEXT) | instid1(VALU_DEP_1)
	v_wmma_f32_16x16x16_f16 v[161:168], v[41:44], v[88:91], v[161:168]
	v_wmma_f32_16x16x16_f16 v[161:168], v[37:40], v[84:87], v[161:168]
	.loc	1 112 24                        ; attention_bwd.py:112:24 @[ attention_bwd.py:253:40 ]
	v_wmma_f32_16x16x16_f16 v[37:44], v[206:209], v[145:148], 0
	v_mov_b32_e32 v207, v53
	v_mov_b32_e32 v53, v185
	s_delay_alu instid0(VALU_DEP_4) | instskip(NEXT) | instid1(VALU_DEP_4)
	.loc	1 104 23                        ; attention_bwd.py:104:23 @[ attention_bwd.py:253:40 ]
	v_wmma_f32_16x16x16_f16 v[161:168], v[120:123], v[80:83], v[161:168]
	.loc	1 112 24                        ; attention_bwd.py:112:24 @[ attention_bwd.py:253:40 ]
	v_wmma_f32_16x16x16_f16 v[37:44], v[33:36], v[188:191], v[37:44]
	.loc	1 121 19                        ; attention_bwd.py:121:19 @[ attention_bwd.py:253:40 ]
	v_add_co_u32 v33, vcc_lo, v234, s12
	s_wait_alu depctr_va_vcc(0)
	v_add_co_ci_u32_e64 v34, null, s13, v235, vcc_lo
	s_delay_alu instid0(VALU_DEP_3) | instskip(SKIP_3) | instid1(VALU_DEP_4)
	.loc	1 112 24                        ; attention_bwd.py:112:24 @[ attention_bwd.py:253:40 ]
	v_wmma_f32_16x16x16_f16 v[37:44], v[196:199], v[212:215], v[37:44]
	.loc	1 104 23                        ; attention_bwd.py:104:23 @[ attention_bwd.py:253:40 ]
	v_wmma_f32_16x16x16_f16 v[161:168], v[128:131], v[76:79], v[161:168]
	v_mov_b32_e32 v198, v180
	v_dual_mov_b32 v180, v181 :: v_dual_mov_b32 v185, v223
	.loc	1 112 24                        ; attention_bwd.py:112:24 @[ attention_bwd.py:253:40 ]
	v_wmma_f32_16x16x16_f16 v[37:44], v[56:59], v[149:152], v[37:44]
	s_delay_alu instid0(VALU_DEP_4)
	.loc	1 104 23                        ; attention_bwd.py:104:23 @[ attention_bwd.py:253:40 ]
	v_wmma_f32_16x16x16_f16 v[161:168], v[124:127], v[72:75], v[161:168]
	v_mov_b32_e32 v151, v177
	v_mov_b32_e32 v177, v222
	;; [unrolled: 1-line block ×3, first 2 shown]
	.loc	1 112 24                        ; attention_bwd.py:112:24 @[ attention_bwd.py:253:40 ]
	v_wmma_f32_16x16x16_f16 v[37:44], v[60:63], v[156:159], v[37:44]
	.loc	1 105 30                        ; attention_bwd.py:105:30 @[ attention_bwd.py:253:40 ]
	v_sub_f32_e32 v128, v163, v183
	v_sub_f32_e32 v131, v166, v183
	v_dual_sub_f32 v129, v164, v183 :: v_dual_mov_b32 v152, v221
	v_sub_f32_e32 v130, v165, v183
	v_sub_f32_e32 v52, v162, v183
	;; [unrolled: 1-line block ×3, first 2 shown]
	v_mov_b32_e32 v156, v153
	v_sub_f32_e32 v51, v161, v183
	v_dual_sub_f32 v161, v167, v183 :: v_dual_mov_b32 v150, v186
	v_mov_b32_e32 v160, v220
	.loc	1 112 24                        ; attention_bwd.py:112:24 @[ attention_bwd.py:253:40 ]
	v_wmma_f32_16x16x16_f16 v[37:44], v[202:205], v[112:115], v[37:44]
	v_mov_b32_e32 v204, v32
	v_mov_b32_e32 v32, v55
	.loc	1 105 25                        ; attention_bwd.py:105:25 @[ attention_bwd.py:253:40 ]
	v_exp_f32_e32 v51, v51
	v_exp_f32_e32 v52, v52
	;; [unrolled: 1-line block ×8, first 2 shown]
	.loc	1 112 24                        ; attention_bwd.py:112:24 @[ attention_bwd.py:253:40 ]
	s_wait_dscnt 0x2
	v_wmma_f32_16x16x16_f16 v[37:44], v[68:71], v[108:111], v[37:44]
	s_wait_dscnt 0x0
	s_delay_alu instid0(VALU_DEP_1) | instskip(SKIP_2) | instid1(VALU_DEP_3)
	v_wmma_f32_16x16x16_f16 v[37:44], v[169:172], v[104:107], v[37:44]
	v_mov_b32_e32 v55, v201
	v_dual_mov_b32 v153, v154 :: v_dual_mov_b32 v154, v155
	.loc	1 113 23                        ; attention_bwd.py:113:23 @[ attention_bwd.py:253:40 ]
	v_sub_f32_e32 v163, v37, v182
	.loc	1 103 21                        ; attention_bwd.py:103:21 @[ attention_bwd.py:253:40 ]
	global_load_u16 v37, v[33:34], off
	.loc	1 121 19                        ; attention_bwd.py:121:19 @[ attention_bwd.py:253:40 ]
	v_add_co_u32 v33, vcc_lo, v232, s12
	.loc	1 113 23                        ; attention_bwd.py:113:23 @[ attention_bwd.py:253:40 ]
	v_sub_f32_e32 v164, v38, v182
	v_sub_f32_e32 v165, v39, v182
	;; [unrolled: 1-line block ×7, first 2 shown]
	.loc	1 121 19                        ; attention_bwd.py:121:19 @[ attention_bwd.py:253:40 ]
	s_wait_alu depctr_va_vcc(0)
	v_add_co_ci_u32_e64 v34, null, s13, v233, vcc_lo
	.loc	1 114 19                        ; attention_bwd.py:114:19 @[ attention_bwd.py:253:40 ]
	v_fma_mixlo_f16 v51, v51, v163, 0
	v_fma_mixlo_f16 v52, v52, v164, 0
	;; [unrolled: 1-line block ×8, first 2 shown]
	.loc	1 103 21                        ; attention_bwd.py:103:21 @[ attention_bwd.py:253:40 ]
	global_load_u16 v38, v[33:34], off
	.loc	1 121 19                        ; attention_bwd.py:121:19 @[ attention_bwd.py:253:40 ]
	v_add_co_u32 v33, vcc_lo, v180, s12
	s_wait_alu depctr_va_vcc(0)
	v_add_co_ci_u32_e64 v34, null, s13, v231, vcc_lo
	.loc	1 103 21                        ; attention_bwd.py:103:21 @[ attention_bwd.py:253:40 ]
	global_load_u16 v39, v[33:34], off
	.loc	1 121 19                        ; attention_bwd.py:121:19 @[ attention_bwd.py:253:40 ]
	v_add_co_u32 v33, vcc_lo, v230, s12
	s_wait_alu depctr_va_vcc(0)
	v_add_co_ci_u32_e64 v34, null, s13, v198, vcc_lo
	;; [unrolled: 6-line block ×14, first 2 shown]
	.loc	1 101 25                        ; attention_bwd.py:101:25 @[ attention_bwd.py:253:40 ]
	v_add_co_u32 v32, vcc_lo, v32, s0
	s_wait_alu depctr_va_vcc(0)
	v_add_co_ci_u32_e64 v53, null, s1, v53, vcc_lo
	v_add_co_u32 v55, vcc_lo, v55, s0
	s_wait_alu depctr_va_vcc(0)
	v_add_co_ci_u32_e64 v149, null, s1, v149, vcc_lo
	v_add_co_u32 v150, vcc_lo, v150, s0
	.loc	1 103 21                        ; attention_bwd.py:103:21 @[ attention_bwd.py:253:40 ]
	global_load_u16 v172, v[33:34], off
	.loc	1 105 25                        ; attention_bwd.py:105:25 @[ attention_bwd.py:253:40 ]
	v_exp_f32_e32 v33, v175
	.loc	1 101 25                        ; attention_bwd.py:101:25 @[ attention_bwd.py:253:40 ]
	s_wait_alu depctr_va_vcc(0)
	v_add_co_ci_u32_e64 v151, null, s1, v151, vcc_lo
	v_add_co_u32 v152, vcc_lo, v152, s0
	s_wait_alu depctr_va_vcc(0)
	v_add_co_ci_u32_e64 v156, null, s1, v156, vcc_lo
	v_add_co_u32 v153, vcc_lo, v153, s0
	;; [unrolled: 3-line block ×5, first 2 shown]
	.loc	1 114 19                        ; attention_bwd.py:114:19 @[ attention_bwd.py:253:40 ]
	v_fma_mixlo_f16 v175, v33, v64, 0
	.loc	1 105 25                        ; attention_bwd.py:105:25 @[ attention_bwd.py:253:40 ]
	v_exp_f32_e32 v33, v178
	.loc	1 101 25                        ; attention_bwd.py:101:25 @[ attention_bwd.py:253:40 ]
	s_wait_alu depctr_va_vcc(0)
	v_add_co_ci_u32_e64 v176, null, s1, v176, vcc_lo
	v_add_co_u32 v177, vcc_lo, v177, s0
	s_wait_alu depctr_va_vcc(0)
	v_add_co_ci_u32_e64 v185, null, s1, v185, vcc_lo
	v_add_co_u32 v224, vcc_lo, v224, s0
	;; [unrolled: 3-line block ×5, first 2 shown]
	.loc	1 114 19                        ; attention_bwd.py:114:19 @[ attention_bwd.py:253:40 ]
	v_fma_mixlo_f16 v178, v33, v65, 0
	.loc	1 105 25                        ; attention_bwd.py:105:25 @[ attention_bwd.py:253:40 ]
	v_exp_f32_e32 v33, v179
	.loc	1 101 25                        ; attention_bwd.py:101:25 @[ attention_bwd.py:253:40 ]
	s_wait_alu depctr_va_vcc(0)
	v_add_co_ci_u32_e64 v198, null, s1, v198, vcc_lo
	v_add_co_u32 v180, vcc_lo, v180, s0
	s_wait_alu depctr_va_vcc(0)
	v_add_co_ci_u32_e64 v231, null, s1, v231, vcc_lo
	v_add_co_u32 v232, vcc_lo, v232, s0
	;; [unrolled: 3-line block ×3, first 2 shown]
	s_wait_alu depctr_va_vcc(0)
	v_add_co_ci_u32_e64 v235, null, s1, v235, vcc_lo
	.loc	1 114 19                        ; attention_bwd.py:114:19 @[ attention_bwd.py:253:40 ]
	v_fma_mixlo_f16 v179, v33, v66, 0
	.loc	1 105 25                        ; attention_bwd.py:105:25 @[ attention_bwd.py:253:40 ]
	v_exp_f32_e32 v33, v173
	s_delay_alu instid0(TRANS32_DEP_1) | instskip(SKIP_1) | instid1(TRANS32_DEP_1)
	.loc	1 114 19                        ; attention_bwd.py:114:19 @[ attention_bwd.py:253:40 ]
	v_fma_mixlo_f16 v173, v33, v67, 0
	.loc	1 105 25                        ; attention_bwd.py:105:25 @[ attention_bwd.py:253:40 ]
	v_exp_f32_e32 v33, v174
	.loc	1 114 19                        ; attention_bwd.py:114:19 @[ attention_bwd.py:253:40 ]
	v_fma_mixlo_f16 v174, v33, v192, 0
	.loc	1 105 25                        ; attention_bwd.py:105:25 @[ attention_bwd.py:253:40 ]
	v_exp_f32_e32 v33, v210
	s_delay_alu instid0(TRANS32_DEP_1) | instskip(SKIP_1) | instid1(TRANS32_DEP_1)
	.loc	1 114 19                        ; attention_bwd.py:114:19 @[ attention_bwd.py:253:40 ]
	v_fma_mixlo_f16 v192, v33, v193, 0
	.loc	1 105 25                        ; attention_bwd.py:105:25 @[ attention_bwd.py:253:40 ]
	v_exp_f32_e32 v33, v211
	.loc	1 114 19                        ; attention_bwd.py:114:19 @[ attention_bwd.py:253:40 ]
	v_fma_mixlo_f16 v193, v33, v194, 0
	.loc	1 105 25                        ; attention_bwd.py:105:25 @[ attention_bwd.py:253:40 ]
	v_exp_f32_e32 v33, v200
	s_delay_alu instid0(TRANS32_DEP_1)
	.loc	1 114 19                        ; attention_bwd.py:114:19 @[ attention_bwd.py:253:40 ]
	v_fma_mixlo_f16 v194, v33, v195, 0
	.loc	1 117 25                        ; attention_bwd.py:117:25 @[ attention_bwd.py:253:40 ]
	ds_load_b128 v[33:36], v204
	ds_load_b128 v[56:59], v204 offset:32
	ds_load_b128 v[60:63], v204 offset:2048
	;; [unrolled: 1-line block ×7, first 2 shown]
	.loc	1 114 19                        ; attention_bwd.py:114:19 @[ attention_bwd.py:253:40 ]
	ds_store_b16 v207, v175 offset:16384
	ds_store_b16 v207, v178 offset:16512
	ds_store_b16 v207, v179 offset:16640
	ds_store_b16 v207, v173 offset:16768
	ds_store_b16 v207, v174 offset:16896
	ds_store_b16 v207, v192 offset:17024
	ds_store_b16 v207, v193 offset:17152
	ds_store_b16 v207, v194 offset:17280
	ds_store_b16 v207, v51 offset:18432
	ds_store_b16 v207, v52 offset:18560
	ds_store_b16 v207, v128 offset:18688
	ds_store_b16 v207, v129 offset:18816
	ds_store_b16 v207, v130 offset:18944
	ds_store_b16 v207, v131 offset:19072
	ds_store_b16 v207, v161 offset:19200
	ds_store_b16 v207, v162 offset:19328
	s_wait_loadcnt_dscnt 0x0
	s_barrier_signal -1
	s_barrier_wait -1
	global_inv scope:SCOPE_SE
	ds_load_u16 v128, v54 offset:16384
	ds_load_u16 v129, v54 offset:16640
	;; [unrolled: 1-line block ×8, first 2 shown]
	s_wait_dscnt 0x7
	ds_load_u16_d16_hi v128, v54 offset:16512
	s_wait_dscnt 0x7
	ds_load_u16_d16_hi v129, v54 offset:16768
	s_wait_dscnt 0x7
	ds_load_u16_d16_hi v130, v54 offset:17024
	s_wait_dscnt 0x7
	ds_load_u16_d16_hi v131, v54 offset:17280
	s_wait_dscnt 0x7
	ds_load_u16_d16_hi v161, v54 offset:18560
	s_wait_dscnt 0x7
	ds_load_u16_d16_hi v162, v54 offset:18816
	s_wait_dscnt 0x7
	ds_load_u16_d16_hi v163, v54 offset:19072
	s_wait_dscnt 0x7
	ds_load_u16_d16_hi v164, v54 offset:19328
	.loc	1 117 25                        ; attention_bwd.py:117:25 @[ attention_bwd.py:253:40 ]
	s_wait_dscnt 0x4
	v_wmma_f32_16x16x16_f16 v[0:7], v[33:36], v[128:131], v[0:7]
	.loc	1 102 21                        ; attention_bwd.py:102:21 @[ attention_bwd.py:253:40 ]
	s_clause 0x2                            ; 12-byte Folded Reload
	scratch_load_b32 v33, off, off offset:96 th:TH_LOAD_LU
	scratch_load_b32 v36, off, off offset:32 th:TH_LOAD_LU
	scratch_load_b32 v35, off, off th:TH_LOAD_LU
	.loc	1 117 25                        ; attention_bwd.py:117:25 @[ attention_bwd.py:253:40 ]
	v_wmma_f32_16x16x16_f16 v[24:31], v[60:63], v[128:131], v[24:31]
	v_wmma_f32_16x16x16_f16 v[16:23], v[68:71], v[128:131], v[16:23]
	;; [unrolled: 1-line block ×3, first 2 shown]
	s_wait_dscnt 0x0
	v_wmma_f32_16x16x16_f16 v[0:7], v[56:59], v[161:164], v[0:7]
	v_wmma_f32_16x16x16_f16 v[24:31], v[64:67], v[161:164], v[24:31]
	;; [unrolled: 1-line block ×4, first 2 shown]
	.loc	1 102 21                        ; attention_bwd.py:102:21 @[ attention_bwd.py:253:40 ]
	s_wait_loadcnt 0x2
	ds_store_b16 v184, v33
	scratch_load_b32 v33, off, off offset:128 th:TH_LOAD_LU ; 4-byte Folded Reload
	.loc	1 101 25                        ; attention_bwd.py:101:25 @[ attention_bwd.py:253:40 ]
	s_wait_loadcnt 0x1
	v_add_co_u32 v35, vcc_lo, v35, s0
	s_wait_alu depctr_va_vcc(0)
	v_add_co_ci_u32_e64 v36, null, s1, v36, vcc_lo
	.loc	1 102 21                        ; attention_bwd.py:102:21 @[ attention_bwd.py:253:40 ]
	s_wait_loadcnt 0x0
	ds_store_b16 v184, v33 offset:512
	scratch_load_b32 v33, off, off offset:144 th:TH_LOAD_LU ; 4-byte Folded Reload
	s_wait_loadcnt 0x0
	ds_store_b16 v184, v33 offset:1024
	scratch_load_b32 v33, off, off offset:160 th:TH_LOAD_LU ; 4-byte Folded Reload
	;; [unrolled: 3-line block ×14, first 2 shown]
	s_wait_loadcnt 0x0
	ds_store_b16 v184, v33 offset:7680
	.loc	1 103 21                        ; attention_bwd.py:103:21 @[ attention_bwd.py:253:40 ]
	ds_store_b16 v184, v37 offset:8192
	scratch_load_b32 v37, off, off offset:64 th:TH_LOAD_LU ; 4-byte Folded Reload
	ds_store_b16 v184, v38 offset:8704
	ds_store_b16 v184, v39 offset:9216
	;; [unrolled: 1-line block ×15, first 2 shown]
	.loc	1 101 25                        ; attention_bwd.py:101:25 @[ attention_bwd.py:253:40 ]
	s_wait_loadcnt 0x0
	v_add_co_u32 v37, vcc_lo, v37, s0
	s_wait_alu depctr_va_vcc(0)
	v_add_co_ci_u32_e64 v236, null, s1, v236, vcc_lo
	v_add_co_u32 v237, vcc_lo, v237, s0
	s_wait_alu depctr_va_vcc(0)
	v_add_co_ci_u32_e64 v238, null, s1, v238, vcc_lo
	;; [unrolled: 3-line block ×15, first 2 shown]
	s_cbranch_scc1 .LBB0_124
; %bb.125:                              ; %Flow
	.loc	1 0 25 is_stmt 0                ; attention_bwd.py:0:25
	s_clause 0x1c                           ; 360-byte Folded Reload
	scratch_load_b64 v[178:179], off, off offset:640
	scratch_load_b64 v[188:189], off, off offset:648
	;; [unrolled: 1-line block ×13, first 2 shown]
	scratch_load_b128 v[220:223], off, off offset:384
	scratch_load_b128 v[76:79], off, off offset:352
	;; [unrolled: 1-line block ×16, first 2 shown]
	v_mov_b32_e32 v161, v54
.LBB0_126:                              ; %._crit_edge330
	.loc	1 117 25 is_stmt 1              ; attention_bwd.py:117:25 @[ attention_bwd.py:253:40 ]
	s_wait_loadcnt_dscnt 0x0
	s_barrier_signal -1
	v_readlane_b32 s4, v255, 17
	v_readlane_b32 s5, v255, 18
	v_dual_mov_b32 v32, 0 :: v_dual_mov_b32 v41, 0
	v_dual_mov_b32 v40, 0 :: v_dual_mov_b32 v43, 0
	;; [unrolled: 1-line block ×8, first 2 shown]
	v_mov_b32_e32 v54, 0
	.loc	1 104 23                        ; attention_bwd.py:104:23 @[ attention_bwd.py:253:40 ]
	s_and_b32 vcc_lo, exec_lo, s2
	s_mov_b64 s[0:1], s[4:5]
	.loc	1 117 25                        ; attention_bwd.py:117:25 @[ attention_bwd.py:253:40 ]
	s_barrier_wait -1
	global_inv scope:SCOPE_SE
	v_readlane_b32 s6, v255, 19
	v_readlane_b32 s7, v255, 20
	.loc	1 104 23                        ; attention_bwd.py:104:23 @[ attention_bwd.py:253:40 ]
	s_wait_alu depctr_sa_sdst(0)
	s_cbranch_vccnz .LBB0_128
; %bb.127:
	.loc	1 102 21                        ; attention_bwd.py:102:21 @[ attention_bwd.py:253:40 ]
	ds_load_u16 v34, v187 offset:7328
	ds_load_u16 v58, v187 offset:7424
	;; [unrolled: 1-line block ×25, first 2 shown]
	v_dual_mov_b32 v215, v148 :: v_dual_mov_b32 v214, v147
	v_dual_mov_b32 v213, v146 :: v_dual_mov_b32 v212, v145
	s_wait_dscnt 0x14
	ds_load_u16_d16_hi v67, v187 offset:5568
	ds_load_u16_d16_hi v62, v187 offset:5472
	ds_load_u16 v151, v187 offset:3488
	ds_load_u16 v116, v187 offset:4096
	;; [unrolled: 1-line block ×5, first 2 shown]
	s_wait_dscnt 0x14
	ds_load_u16_d16_hi v127, v187 offset:2496
	ds_load_u16_d16_hi v122, v187 offset:2400
	ds_load_u16 v140, v187 offset:6176
	ds_load_u16 v145, v187 offset:6272
	ds_load_u16 v48, v187
	ds_load_u16 v136, v187 offset:32
	s_wait_dscnt 0x15
	ds_load_u16_d16_hi v139, v187 offset:480
	s_wait_dscnt 0x15
	ds_load_u16_d16_hi v133, v187 offset:1216
	;; [unrolled: 2-line block ×3, first 2 shown]
	ds_load_u16 v51, v187 offset:384
	ds_load_u16 v50, v187 offset:256
	;; [unrolled: 1-line block ×5, first 2 shown]
	s_wait_dscnt 0x19
	ds_load_u16_d16_hi v143, v187 offset:6624
	s_wait_dscnt 0x19
	ds_load_u16_d16_hi v56, v187 offset:7232
	ds_load_u16 v147, v187 offset:6528
	ds_load_u16 v146, v187 offset:6400
	s_wait_dscnt 0x19
	ds_load_u16_d16_hi v144, v187 offset:6208
	ds_load_u16_d16_hi v63, v187 offset:5600
	;; [unrolled: 1-line block ×3, first 2 shown]
	ds_load_u16 v57, v187 offset:7296
	ds_load_u16 v141, v187 offset:6304
	s_wait_dscnt 0x13
	ds_load_u16_d16_hi v145, v187 offset:6336
	ds_load_u16_d16_hi v140, v187 offset:6240
	;; [unrolled: 1-line block ×4, first 2 shown]
	ds_load_u16 v155, v187 offset:3456
	ds_load_u16 v154, v187 offset:3328
	ds_load_u16_d16_hi v152, v187 offset:3136
	ds_load_u16_d16_hi v123, v187 offset:2528
	;; [unrolled: 1-line block ×3, first 2 shown]
	ds_load_u16 v117, v187 offset:4224
	ds_load_u16 v149, v187 offset:3232
	s_wait_dscnt 0x14
	ds_load_u16_d16_hi v153, v187 offset:3264
	ds_load_u16_d16_hi v148, v187 offset:3168
	ds_load_u16 v120, v187 offset:2080
	ds_load_u16 v137, v187 offset:160
	;; [unrolled: 1-line block ×3, first 2 shown]
	ds_load_u16_d16_hi v51, v187 offset:448
	ds_load_u16 v131, v187 offset:1440
	ds_load_u16 v130, v187 offset:1312
	;; [unrolled: 1-line block ×5, first 2 shown]
	ds_load_u16_d16_hi v134, v187 offset:1344
	ds_load_u16_d16_hi v129, v187 offset:1248
	;; [unrolled: 1-line block ×5, first 2 shown]
	ds_load_u16 v59, v187 offset:7552
	s_wait_dscnt 0x22
	ds_load_u16_d16_hi v147, v187 offset:6592
	ds_load_u16 v36, v187 offset:7584
	ds_load_u16 v35, v187 offset:7456
	ds_load_u16_d16_hi v33, v187 offset:7264
	ds_load_u16_d16_hi v58, v187 offset:7488
	s_wait_dscnt 0x22
	ds_load_u16_d16_hi v57, v187 offset:7360
	ds_load_u16 v71, v187 offset:4512
	ds_load_u16 v70, v187 offset:4384
	;; [unrolled: 1-line block ×4, first 2 shown]
	ds_load_u16_d16_hi v142, v187 offset:6496
	s_wait_dscnt 0x27
	ds_load_u16_d16_hi v141, v187 offset:6368
	ds_load_u16_d16_hi v146, v187 offset:6464
	s_wait_dscnt 0xb
	ds_load_u16_d16_hi v36, v187 offset:7648
	s_wait_dscnt 0xb
	ds_load_u16_d16_hi v35, v187 offset:7520
	ds_load_u16_d16_hi v59, v187 offset:7616
	;; [unrolled: 1-line block ×7, first 2 shown]
	ds_load_u16 v66, v187 offset:5376
	ds_load_u16 v65, v187 offset:5248
	ds_load_u16_d16_hi v68, v187 offset:4192
	ds_load_u16_d16_hi v118, v187 offset:4416
	;; [unrolled: 1-line block ×14, first 2 shown]
	s_wait_dscnt 0x1c
	ds_load_u16_d16_hi v64, v187 offset:5184
	ds_load_u16_d16_hi v71, v187 offset:4576
	;; [unrolled: 1-line block ×3, first 2 shown]
	s_wait_dscnt 0x1e
	ds_load_u16_d16_hi v119, v187 offset:4544
	.loc	1 104 23                        ; attention_bwd.py:104:23 @[ attention_bwd.py:253:40 ]
	s_wait_dscnt 0x14
	v_wmma_f32_16x16x16_f16 v[40:47], v[48:51], v[100:103], 0
	v_wmma_f32_16x16x16_f16 v[48:55], v[136:139], v[100:103], 0
	.loc	1 102 21                        ; attention_bwd.py:102:21 @[ attention_bwd.py:253:40 ]
	ds_load_u16_d16_hi v61, v187 offset:5344
	ds_load_u16_d16_hi v60, v187 offset:5216
	s_wait_dscnt 0x15
	ds_load_u16_d16_hi v66, v187 offset:5440
	s_wait_dscnt 0x15
	ds_load_u16_d16_hi v65, v187 offset:5312
	.loc	1 104 23                        ; attention_bwd.py:104:23 @[ attention_bwd.py:253:40 ]
	s_wait_dscnt 0x10
	v_wmma_f32_16x16x16_f16 v[48:55], v[128:131], v[96:99], v[48:55]
	s_wait_dscnt 0xf
	v_wmma_f32_16x16x16_f16 v[40:47], v[132:135], v[96:99], v[40:47]
	s_wait_dscnt 0xd
	s_delay_alu instid0(VALU_DEP_2) | instskip(SKIP_1) | instid1(VALU_DEP_2)
	v_wmma_f32_16x16x16_f16 v[48:55], v[120:123], v[92:95], v[48:55]
	s_wait_dscnt 0xb
	v_wmma_f32_16x16x16_f16 v[40:47], v[124:127], v[92:95], v[40:47]
	s_wait_dscnt 0x9
	s_delay_alu instid0(VALU_DEP_2) | instskip(SKIP_1) | instid1(VALU_DEP_2)
	;; [unrolled: 5-line block ×4, first 2 shown]
	v_wmma_f32_16x16x16_f16 v[48:55], v[60:63], v[80:83], v[48:55]
	s_wait_dscnt 0x0
	v_wmma_f32_16x16x16_f16 v[40:47], v[64:67], v[80:83], v[40:47]
	s_delay_alu instid0(VALU_DEP_2) | instskip(NEXT) | instid1(VALU_DEP_2)
	v_wmma_f32_16x16x16_f16 v[48:55], v[140:143], v[76:79], v[48:55]
	v_wmma_f32_16x16x16_f16 v[40:47], v[144:147], v[76:79], v[40:47]
	v_dual_mov_b32 v145, v212 :: v_dual_mov_b32 v146, v213
	v_dual_mov_b32 v147, v214 :: v_dual_mov_b32 v148, v215
	s_delay_alu instid0(VALU_DEP_3)
	v_wmma_f32_16x16x16_f16 v[40:47], v[56:59], v[220:223], v[40:47]
	v_wmma_f32_16x16x16_f16 v[48:55], v[33:36], v[220:223], v[48:55]
.LBB0_128:
	.loc	1 0 23 is_stmt 0                ; attention_bwd.py:0:23
	v_dual_mov_b32 v33, 0 :: v_dual_mov_b32 v34, 0
	v_dual_mov_b32 v35, 0 :: v_dual_mov_b32 v36, 0
	;; [unrolled: 1-line block ×7, first 2 shown]
	v_mov_b32_e32 v63, 0
	.loc	1 112 24 is_stmt 1              ; attention_bwd.py:112:24 @[ attention_bwd.py:253:40 ]
	s_and_b32 vcc_lo, exec_lo, s2
	s_wait_alu depctr_sa_sdst(0)
	s_cbranch_vccnz .LBB0_130
; %bb.129:
	.loc	1 0 0 is_stmt 0                 ; attention_bwd.py:0 @[ attention_bwd.py:253:40 ]
	ds_load_u16 v32, v187 offset:8192
	ds_load_u16 v60, v187 offset:8224
	;; [unrolled: 1-line block ×61, first 2 shown]
	v_dual_mov_b32 v215, v148 :: v_dual_mov_b32 v214, v147
	v_dual_mov_b32 v213, v146 :: v_dual_mov_b32 v212, v145
	.loc	1 112 24                        ; attention_bwd.py:112:24 @[ attention_bwd.py:253:40 ]
	s_wait_dscnt 0x31
	v_perm_b32 v59, v39, v38, 0x5040100
	v_perm_b32 v58, v37, v36, 0x5040100
	;; [unrolled: 1-line block ×4, first 2 shown]
	.loc	1 0 0                           ; attention_bwd.py:0 @[ attention_bwd.py:253:40 ]
	ds_load_u16 v156, v187 offset:12544
	ds_load_u16 v157, v187 offset:12608
	;; [unrolled: 1-line block ×16, first 2 shown]
	v_dual_mov_b32 v92, v162 :: v_dual_mov_b32 v95, v165
	v_dual_mov_b32 v96, v166 :: v_dual_mov_b32 v99, v169
	;; [unrolled: 1-line block ×5, first 2 shown]
	v_mov_b32_e32 v102, v172
	.loc	1 112 24                        ; attention_bwd.py:112:24 @[ attention_bwd.py:253:40 ]
	v_wmma_f32_16x16x16_f16 v[32:39], v[56:59], v[212:215], 0
	s_wait_dscnt 0x31
	v_perm_b32 v59, v79, v78, 0x5040100
	v_perm_b32 v58, v77, v76, 0x5040100
	;; [unrolled: 1-line block ×4, first 2 shown]
	v_dual_mov_b32 v94, v164 :: v_dual_mov_b32 v97, v167
	.loc	1 0 0                           ; attention_bwd.py:0 @[ attention_bwd.py:253:40 ]
	ds_load_u16 v76, v187 offset:13568
	ds_load_u16 v77, v187 offset:13632
	;; [unrolled: 1-line block ×9, first 2 shown]
	.loc	1 112 24                        ; attention_bwd.py:112:24 @[ attention_bwd.py:253:40 ]
	v_wmma_f32_16x16x16_f16 v[32:39], v[56:59], v[100:103], v[32:39]
	s_wait_dscnt 0x2a
	v_perm_b32 v59, v127, v126, 0x5040100
	v_perm_b32 v58, v125, v124, 0x5040100
	;; [unrolled: 1-line block ×4, first 2 shown]
	.loc	1 0 0                           ; attention_bwd.py:0 @[ attention_bwd.py:253:40 ]
	ds_load_u16 v162, v187 offset:12640
	ds_load_u16 v163, v187 offset:12576
	.loc	1 112 24                        ; attention_bwd.py:112:24 @[ attention_bwd.py:253:40 ]
	v_perm_b32 v71, v64, v65, 0x5040100
	v_perm_b32 v70, v66, v68, 0x5040100
	;; [unrolled: 1-line block ×3, first 2 shown]
	v_wmma_f32_16x16x16_f16 v[32:39], v[56:59], v[96:99], v[32:39]
	s_wait_dscnt 0x1c
	v_perm_b32 v59, v143, v142, 0x5040100
	v_perm_b32 v58, v141, v140, 0x5040100
	;; [unrolled: 1-line block ×5, first 2 shown]
	.loc	1 0 0                           ; attention_bwd.py:0 @[ attention_bwd.py:253:40 ]
	ds_load_u16 v164, v187 offset:13312
	ds_load_u16 v165, v187 offset:13376
	;; [unrolled: 1-line block ×8, first 2 shown]
	.loc	1 112 24                        ; attention_bwd.py:112:24 @[ attention_bwd.py:253:40 ]
	v_wmma_f32_16x16x16_f16 v[32:39], v[56:59], v[92:95], v[32:39]
	s_wait_dscnt 0x1f
	v_perm_b32 v67, v159, v158, 0x5040100
	v_perm_b32 v66, v157, v156, 0x5040100
	s_wait_dscnt 0x17
	v_perm_b32 v65, v151, v150, 0x5040100
	v_perm_b32 v64, v149, v148, 0x5040100
	v_wmma_f32_16x16x16_f16 v[56:63], v[68:71], v[212:215], 0
	v_perm_b32 v71, v80, v81, 0x5040100
	v_perm_b32 v70, v82, v83, 0x5040100
	;; [unrolled: 1-line block ×4, first 2 shown]
	.loc	1 0 0                           ; attention_bwd.py:0 @[ attention_bwd.py:253:40 ]
	ds_load_u16 v116, v187 offset:14336
	ds_load_u16 v117, v187 offset:14400
	ds_load_u16 v118, v187 offset:14464
	ds_load_u16 v119, v187 offset:14528
	ds_load_u16 v124, v187 offset:14560
	ds_load_u16 v125, v187 offset:14496
	ds_load_u16 v126, v187 offset:14432
	ds_load_u16 v127, v187 offset:14368
	ds_load_u16 v132, v187 offset:14592
	ds_load_u16 v133, v187 offset:14656
	ds_load_u16 v134, v187 offset:14720
	ds_load_u16 v135, v187 offset:14784
	ds_load_u16 v140, v187 offset:14816
	ds_load_u16 v141, v187 offset:14752
	ds_load_u16 v142, v187 offset:14688
	ds_load_u16 v143, v187 offset:14624
	.loc	1 112 24                        ; attention_bwd.py:112:24 @[ attention_bwd.py:253:40 ]
	v_wmma_f32_16x16x16_f16 v[32:39], v[64:67], v[88:91], v[32:39]
	v_perm_b32 v67, v128, v129, 0x5040100
	v_wmma_f32_16x16x16_f16 v[56:63], v[68:71], v[100:103], v[56:63]
	v_perm_b32 v66, v130, v131, 0x5040100
	v_perm_b32 v65, v120, v121, 0x5040100
	;; [unrolled: 1-line block ×3, first 2 shown]
	v_dual_mov_b32 v84, v104 :: v_dual_mov_b32 v85, v105
	v_dual_mov_b32 v86, v106 :: v_dual_mov_b32 v87, v107
	.loc	1 0 0                           ; attention_bwd.py:0 @[ attention_bwd.py:253:40 ]
	ds_load_u16 v72, v187 offset:15360
	ds_load_u16 v73, v187 offset:15424
	;; [unrolled: 1-line block ×8, first 2 shown]
	.loc	1 112 24                        ; attention_bwd.py:112:24 @[ attention_bwd.py:253:40 ]
	s_wait_dscnt 0x27
	v_perm_b32 v71, v79, v78, 0x5040100
	v_perm_b32 v70, v77, v76, 0x5040100
	v_wmma_f32_16x16x16_f16 v[56:63], v[64:67], v[96:99], v[56:63]
	v_perm_b32 v67, v144, v145, 0x5040100
	v_perm_b32 v66, v146, v147, 0x5040100
	;; [unrolled: 1-line block ×4, first 2 shown]
	.loc	1 0 0                           ; attention_bwd.py:0 @[ attention_bwd.py:253:40 ]
	ds_load_u16 v76, v187 offset:15616
	ds_load_u16 v77, v187 offset:15680
	;; [unrolled: 1-line block ×8, first 2 shown]
	.loc	1 112 24                        ; attention_bwd.py:112:24 @[ attention_bwd.py:253:40 ]
	s_wait_dscnt 0x24
	v_perm_b32 v69, v167, v166, 0x5040100
	v_perm_b32 v68, v165, v164, 0x5040100
	v_wmma_f32_16x16x16_f16 v[56:63], v[64:67], v[92:95], v[56:63]
	v_perm_b32 v67, v160, v161, 0x5040100
	v_perm_b32 v66, v162, v163, 0x5040100
	;; [unrolled: 1-line block ×4, first 2 shown]
	v_wmma_f32_16x16x16_f16 v[32:39], v[68:71], v[112:115], v[32:39]
	s_wait_dscnt 0x14
	v_perm_b32 v71, v135, v134, 0x5040100
	v_perm_b32 v70, v133, v132, 0x5040100
	;; [unrolled: 1-line block ×3, first 2 shown]
	v_wmma_f32_16x16x16_f16 v[56:63], v[64:67], v[88:91], v[56:63]
	v_perm_b32 v67, v172, v173, 0x5040100
	v_perm_b32 v66, v174, v175, 0x5040100
	;; [unrolled: 1-line block ×5, first 2 shown]
	v_mov_b32_e32 v161, v176
	s_delay_alu instid0(VALU_DEP_3)
	v_wmma_f32_16x16x16_f16 v[56:63], v[64:67], v[112:115], v[56:63]
	s_wait_dscnt 0x12
	v_perm_b32 v67, v140, v141, 0x5040100
	s_wait_dscnt 0x10
	v_perm_b32 v66, v142, v143, 0x5040100
	v_perm_b32 v65, v124, v125, 0x5040100
	;; [unrolled: 1-line block ×3, first 2 shown]
	v_wmma_f32_16x16x16_f16 v[32:39], v[68:71], v[108:111], v[32:39]
	s_wait_dscnt 0x4
	v_perm_b32 v71, v79, v78, 0x5040100
	v_perm_b32 v70, v77, v76, 0x5040100
	;; [unrolled: 1-line block ×4, first 2 shown]
	v_wmma_f32_16x16x16_f16 v[56:63], v[64:67], v[108:111], v[56:63]
	s_wait_dscnt 0x2
	v_perm_b32 v67, v104, v105, 0x5040100
	s_wait_dscnt 0x0
	v_perm_b32 v66, v106, v107, 0x5040100
	v_perm_b32 v65, v80, v81, 0x5040100
	;; [unrolled: 1-line block ×3, first 2 shown]
	v_wmma_f32_16x16x16_f16 v[32:39], v[68:71], v[84:87], v[32:39]
	s_delay_alu instid0(VALU_DEP_2)
	v_wmma_f32_16x16x16_f16 v[56:63], v[64:67], v[84:87], v[56:63]
.LBB0_130:
	.loc	1 0 0                           ; attention_bwd.py:0 @[ attention_bwd.py:253:40 ]
	ds_load_b128 v[92:95], v204
	ds_load_b128 v[64:67], v204 offset:32
	ds_load_b128 v[88:91], v204 offset:2048
	;; [unrolled: 1-line block ×7, first 2 shown]
	.loc	1 105 30 is_stmt 1              ; attention_bwd.py:105:30 @[ attention_bwd.py:253:40 ]
	v_dual_sub_f32 v40, v40, v183 :: v_dual_sub_f32 v33, v33, v182
	v_dual_sub_f32 v41, v41, v183 :: v_dual_sub_f32 v32, v32, v182
	;; [unrolled: 1-line block ×16, first 2 shown]
	.loc	1 105 25 is_stmt 0              ; attention_bwd.py:105:25 @[ attention_bwd.py:253:40 ]
	v_exp_f32_e32 v40, v40
	v_exp_f32_e32 v41, v41
	;; [unrolled: 1-line block ×16, first 2 shown]
	.loc	1 114 19 is_stmt 1              ; attention_bwd.py:114:19 @[ attention_bwd.py:253:40 ]
	v_fma_mixlo_f16 v32, v40, v32, 0
	v_fma_mixlo_f16 v33, v41, v33, 0
	;; [unrolled: 1-line block ×16, first 2 shown]
	ds_store_b16 v207, v32 offset:16384
	ds_store_b16 v207, v33 offset:16512
	;; [unrolled: 1-line block ×16, first 2 shown]
	.loc	1 117 25                        ; attention_bwd.py:117:25 @[ attention_bwd.py:253:40 ]
	s_and_b32 vcc_lo, exec_lo, s2
	.loc	1 114 19                        ; attention_bwd.py:114:19 @[ attention_bwd.py:253:40 ]
	s_wait_loadcnt_dscnt 0x0
	s_barrier_signal -1
	s_barrier_wait -1
	global_inv scope:SCOPE_SE
	.loc	1 117 25                        ; attention_bwd.py:117:25 @[ attention_bwd.py:253:40 ]
	s_wait_alu depctr_sa_sdst(0)
	s_cbranch_vccnz .LBB0_132
; %bb.131:
	.loc	1 114 19                        ; attention_bwd.py:114:19 @[ attention_bwd.py:253:40 ]
	ds_load_u16 v35, v161 offset:17152
	ds_load_u16 v34, v161 offset:16896
	;; [unrolled: 1-line block ×8, first 2 shown]
	s_wait_dscnt 0x7
	ds_load_u16_d16_hi v35, v161 offset:17280
	s_wait_dscnt 0x7
	ds_load_u16_d16_hi v34, v161 offset:17024
	;; [unrolled: 2-line block ×8, first 2 shown]
	.loc	1 117 25                        ; attention_bwd.py:117:25 @[ attention_bwd.py:253:40 ]
	s_wait_dscnt 0x4
	v_wmma_f32_16x16x16_f16 v[0:7], v[92:95], v[32:35], v[0:7]
	v_wmma_f32_16x16x16_f16 v[24:31], v[88:91], v[32:35], v[24:31]
	;; [unrolled: 1-line block ×4, first 2 shown]
	s_wait_dscnt 0x0
	v_wmma_f32_16x16x16_f16 v[0:7], v[64:67], v[36:39], v[0:7]
	v_wmma_f32_16x16x16_f16 v[24:31], v[68:71], v[36:39], v[24:31]
	;; [unrolled: 1-line block ×4, first 2 shown]
.Ltmp31:
.LBB0_132:                              ; %._crit_edge370
	.loc	1 0 25 is_stmt 0                ; attention_bwd.py:0:25
	s_clause 0x13                           ; 160-byte Folded Reload
	scratch_load_b64 v[56:57], off, off offset:480 th:TH_LOAD_LU
	scratch_load_b64 v[58:59], off, off offset:488 th:TH_LOAD_LU
	;; [unrolled: 1-line block ×20, first 2 shown]
	.loc	1 152 10 is_stmt 1              ; attention_bwd.py:152:10
	s_add_nc_u64 s[0:1], s[0:1], s[12:13]
	.loc	1 257 19                        ; attention_bwd.py:257:19
	s_wait_alu depctr_sa_sdst(0)
	v_add_co_u32 v94, vcc_lo, s0, v178
	s_wait_alu depctr_va_vcc(0)
	v_add_co_ci_u32_e64 v95, null, s1, v179, vcc_lo
	s_mov_b32 s0, 0x3f317218
	.loc	1 257 50 is_stmt 0              ; attention_bwd.py:257:50
	v_add_co_u32 v32, vcc_lo, v94, v188
	s_wait_alu depctr_va_vcc(0)
	v_add_co_ci_u32_e64 v33, null, v95, v189, vcc_lo
	v_add_co_u32 v34, vcc_lo, v94, v190
	s_wait_alu depctr_va_vcc(0)
	v_add_co_ci_u32_e64 v35, null, v95, v191, vcc_lo
	;; [unrolled: 3-line block ×12, first 2 shown]
	.loc	1 259 22 is_stmt 1              ; attention_bwd.py:259:22
	s_wait_alu depctr_sa_sdst(0)
	v_fma_mixlo_f16 v0, v0, s0, 0
	v_fma_mixlo_f16 v1, v1, s0, 0
	v_fma_mixlo_f16 v2, v2, s0, 0
	v_fma_mixlo_f16 v3, v3, s0, 0
	v_fma_mixlo_f16 v4, v4, s0, 0
	v_fma_mixlo_f16 v5, v5, s0, 0
	v_fma_mixlo_f16 v6, v6, s0, 0
	v_fma_mixlo_f16 v7, v7, s0, 0
	v_fma_mixlo_f16 v24, v24, s0, 0
	v_fma_mixlo_f16 v25, v25, s0, 0
	v_fma_mixlo_f16 v26, v26, s0, 0
	v_fma_mixlo_f16 v27, v27, s0, 0
	v_fma_mixlo_f16 v28, v28, s0, 0
	v_fma_mixlo_f16 v29, v29, s0, 0
	v_fma_mixlo_f16 v30, v30, s0, 0
	v_fma_mixlo_f16 v31, v31, s0, 0
	v_fma_mixlo_f16 v16, v16, s0, 0
	v_fma_mixlo_f16 v17, v17, s0, 0
	v_fma_mixlo_f16 v18, v18, s0, 0
	v_fma_mixlo_f16 v19, v19, s0, 0
	v_fma_mixlo_f16 v20, v20, s0, 0
	v_fma_mixlo_f16 v21, v21, s0, 0
	v_fma_mixlo_f16 v22, v22, s0, 0
	v_fma_mixlo_f16 v23, v23, s0, 0
	v_fma_mixlo_f16 v8, v8, s0, 0
	v_fma_mixlo_f16 v9, v9, s0, 0
	v_fma_mixlo_f16 v10, v10, s0, 0
	v_fma_mixlo_f16 v11, v11, s0, 0
	v_fma_mixlo_f16 v12, v12, s0, 0
	v_fma_mixlo_f16 v13, v13, s0, 0
	v_fma_mixlo_f16 v14, v14, s0, 0
	v_fma_mixlo_f16 v15, v15, s0, 0
	.loc	1 257 50                        ; attention_bwd.py:257:50
	s_wait_loadcnt 0x13
	v_add_co_u32 v56, vcc_lo, v94, v56
	s_wait_alu depctr_va_vcc(0)
	v_add_co_ci_u32_e64 v57, null, v95, v57, vcc_lo
	s_wait_loadcnt 0x12
	v_add_co_u32 v58, vcc_lo, v94, v58
	s_wait_alu depctr_va_vcc(0)
	v_add_co_ci_u32_e64 v59, null, v95, v59, vcc_lo
	;; [unrolled: 4-line block ×20, first 2 shown]
	.loc	1 259 22                        ; attention_bwd.py:259:22
	s_clause 0x1f
	global_store_b16 v[32:33], v0, off
	global_store_b16 v[34:35], v1, off
	;; [unrolled: 1-line block ×32, first 2 shown]
	.loc	1 259 4 is_stmt 0               ; attention_bwd.py:259:4
	s_nop 0
	s_sendmsg sendmsg(MSG_DEALLOC_VGPRS)
	s_endpgm
.LBB0_133:
.Ltmp32:
	.loc	1 93 49 is_stmt 1               ; attention_bwd.py:93:49 @[ attention_bwd.py:253:40 ]
	s_lshl_b64 s[0:1], s[44:45], 1
	s_wait_alu depctr_sa_sdst(0)
	v_add_co_u32 v2, vcc_lo, v0, s0
	s_wait_alu depctr_va_vcc(0)
	v_add_co_ci_u32_e64 v3, null, s1, v1, vcc_lo
	.loc	1 102 21                        ; attention_bwd.py:102:21 @[ attention_bwd.py:253:40 ]
	global_load_u16 v39, v[2:3], off
	s_and_b32 vcc_lo, exec_lo, s2
	s_wait_alu depctr_sa_sdst(0)
	s_cbranch_vccnz .LBB0_84
.LBB0_134:
	.loc	1 93 49                         ; attention_bwd.py:93:49 @[ attention_bwd.py:253:40 ]
	s_lshl_b64 s[0:1], s[46:47], 1
	s_wait_alu depctr_sa_sdst(0)
	v_add_co_u32 v2, vcc_lo, v0, s0
	s_wait_alu depctr_va_vcc(0)
	v_add_co_ci_u32_e64 v3, null, s1, v1, vcc_lo
	.loc	1 102 21                        ; attention_bwd.py:102:21 @[ attention_bwd.py:253:40 ]
	global_load_u16 v38, v[2:3], off
	v_dual_mov_b32 v40, 0 :: v_dual_mov_b32 v41, 0
	s_and_b32 vcc_lo, exec_lo, s2
	s_wait_alu depctr_sa_sdst(0)
	s_cbranch_vccnz .LBB0_85
.LBB0_135:
	.loc	1 93 49                         ; attention_bwd.py:93:49 @[ attention_bwd.py:253:40 ]
	s_lshl_b64 s[0:1], s[76:77], 1
	s_wait_alu depctr_sa_sdst(0)
	v_add_co_u32 v2, vcc_lo, v0, s0
	s_wait_alu depctr_va_vcc(0)
	v_add_co_ci_u32_e64 v3, null, s1, v1, vcc_lo
	.loc	1 102 21                        ; attention_bwd.py:102:21 @[ attention_bwd.py:253:40 ]
	global_load_u16 v41, v[2:3], off
	s_and_b32 vcc_lo, exec_lo, s2
	s_wait_alu depctr_sa_sdst(0)
	s_cbranch_vccnz .LBB0_86
.LBB0_136:
	.loc	1 93 49                         ; attention_bwd.py:93:49 @[ attention_bwd.py:253:40 ]
	s_lshl_b64 s[0:1], s[48:49], 1
	s_wait_alu depctr_sa_sdst(0)
	v_add_co_u32 v2, vcc_lo, v0, s0
	s_wait_alu depctr_va_vcc(0)
	v_add_co_ci_u32_e64 v3, null, s1, v1, vcc_lo
	.loc	1 102 21                        ; attention_bwd.py:102:21 @[ attention_bwd.py:253:40 ]
	global_load_u16 v40, v[2:3], off
	v_dual_mov_b32 v42, 0 :: v_dual_mov_b32 v43, 0
	s_and_b32 vcc_lo, exec_lo, s2
	s_wait_alu depctr_sa_sdst(0)
	s_cbranch_vccnz .LBB0_87
.LBB0_137:
	.loc	1 93 49                         ; attention_bwd.py:93:49 @[ attention_bwd.py:253:40 ]
	s_lshl_b64 s[0:1], s[8:9], 1
	s_wait_alu depctr_sa_sdst(0)
	v_add_co_u32 v2, vcc_lo, v0, s0
	s_wait_alu depctr_va_vcc(0)
	v_add_co_ci_u32_e64 v3, null, s1, v1, vcc_lo
	.loc	1 102 21                        ; attention_bwd.py:102:21 @[ attention_bwd.py:253:40 ]
	global_load_u16 v43, v[2:3], off
	s_and_b32 vcc_lo, exec_lo, s2
	s_wait_alu depctr_sa_sdst(0)
	s_cbranch_vccnz .LBB0_88
.LBB0_138:
	.loc	1 93 49                         ; attention_bwd.py:93:49 @[ attention_bwd.py:253:40 ]
	s_lshl_b64 s[0:1], s[10:11], 1
	s_wait_alu depctr_sa_sdst(0)
	v_add_co_u32 v2, vcc_lo, v0, s0
	s_wait_alu depctr_va_vcc(0)
	v_add_co_ci_u32_e64 v3, null, s1, v1, vcc_lo
	.loc	1 102 21                        ; attention_bwd.py:102:21 @[ attention_bwd.py:253:40 ]
	global_load_u16 v42, v[2:3], off
	v_dual_mov_b32 v44, 0 :: v_dual_mov_b32 v45, 0
	s_and_b32 vcc_lo, exec_lo, s2
	s_wait_alu depctr_sa_sdst(0)
	s_cbranch_vccnz .LBB0_89
.LBB0_139:
	.loc	1 93 49                         ; attention_bwd.py:93:49 @[ attention_bwd.py:253:40 ]
	s_lshl_b64 s[0:1], s[14:15], 1
	s_wait_alu depctr_sa_sdst(0)
	v_add_co_u32 v2, vcc_lo, v0, s0
	s_wait_alu depctr_va_vcc(0)
	v_add_co_ci_u32_e64 v3, null, s1, v1, vcc_lo
	.loc	1 102 21                        ; attention_bwd.py:102:21 @[ attention_bwd.py:253:40 ]
	global_load_u16 v45, v[2:3], off
	s_and_b32 vcc_lo, exec_lo, s2
	s_wait_alu depctr_sa_sdst(0)
	s_cbranch_vccnz .LBB0_90
.LBB0_140:
	.loc	1 93 49                         ; attention_bwd.py:93:49 @[ attention_bwd.py:253:40 ]
	s_lshl_b64 s[0:1], s[16:17], 1
	s_wait_alu depctr_sa_sdst(0)
	v_add_co_u32 v2, vcc_lo, v0, s0
	s_wait_alu depctr_va_vcc(0)
	v_add_co_ci_u32_e64 v3, null, s1, v1, vcc_lo
	.loc	1 102 21                        ; attention_bwd.py:102:21 @[ attention_bwd.py:253:40 ]
	global_load_u16 v44, v[2:3], off
	v_dual_mov_b32 v46, 0 :: v_dual_mov_b32 v47, 0
	s_and_b32 vcc_lo, exec_lo, s2
	s_wait_alu depctr_sa_sdst(0)
	s_cbranch_vccnz .LBB0_91
.LBB0_141:
	.loc	1 93 49                         ; attention_bwd.py:93:49 @[ attention_bwd.py:253:40 ]
	s_lshl_b64 s[0:1], s[18:19], 1
	s_wait_alu depctr_sa_sdst(0)
	v_add_co_u32 v2, vcc_lo, v0, s0
	s_wait_alu depctr_va_vcc(0)
	v_add_co_ci_u32_e64 v3, null, s1, v1, vcc_lo
	.loc	1 102 21                        ; attention_bwd.py:102:21 @[ attention_bwd.py:253:40 ]
	global_load_u16 v47, v[2:3], off
	s_and_b32 vcc_lo, exec_lo, s2
	s_wait_alu depctr_sa_sdst(0)
	s_cbranch_vccnz .LBB0_92
.LBB0_142:
	.loc	1 93 49                         ; attention_bwd.py:93:49 @[ attention_bwd.py:253:40 ]
	s_lshl_b64 s[0:1], s[52:53], 1
	s_wait_alu depctr_sa_sdst(0)
	v_add_co_u32 v2, vcc_lo, v0, s0
	s_wait_alu depctr_va_vcc(0)
	v_add_co_ci_u32_e64 v3, null, s1, v1, vcc_lo
	.loc	1 102 21                        ; attention_bwd.py:102:21 @[ attention_bwd.py:253:40 ]
	global_load_u16 v46, v[2:3], off
	v_dual_mov_b32 v48, 0 :: v_dual_mov_b32 v49, 0
	s_and_b32 vcc_lo, exec_lo, s2
	s_wait_alu depctr_sa_sdst(0)
	s_cbranch_vccnz .LBB0_93
.LBB0_143:
	.loc	1 93 49                         ; attention_bwd.py:93:49 @[ attention_bwd.py:253:40 ]
	s_lshl_b64 s[0:1], s[62:63], 1
	s_wait_alu depctr_sa_sdst(0)
	v_add_co_u32 v2, vcc_lo, v0, s0
	s_wait_alu depctr_va_vcc(0)
	v_add_co_ci_u32_e64 v3, null, s1, v1, vcc_lo
	.loc	1 102 21                        ; attention_bwd.py:102:21 @[ attention_bwd.py:253:40 ]
	global_load_u16 v49, v[2:3], off
	s_and_b32 vcc_lo, exec_lo, s2
	s_wait_alu depctr_sa_sdst(0)
	s_cbranch_vccnz .LBB0_94
.LBB0_144:
	.loc	1 93 49                         ; attention_bwd.py:93:49 @[ attention_bwd.py:253:40 ]
	s_lshl_b64 s[0:1], s[78:79], 1
	s_wait_alu depctr_sa_sdst(0)
	v_add_co_u32 v2, vcc_lo, v0, s0
	s_wait_alu depctr_va_vcc(0)
	v_add_co_ci_u32_e64 v3, null, s1, v1, vcc_lo
	.loc	1 102 21                        ; attention_bwd.py:102:21 @[ attention_bwd.py:253:40 ]
	global_load_u16 v48, v[2:3], off
	v_dual_mov_b32 v50, 0 :: v_dual_mov_b32 v51, 0
	s_and_b32 vcc_lo, exec_lo, s2
	s_wait_alu depctr_sa_sdst(0)
	s_cbranch_vccnz .LBB0_95
.LBB0_145:
	.loc	1 93 49                         ; attention_bwd.py:93:49 @[ attention_bwd.py:253:40 ]
	s_lshl_b64 s[0:1], s[90:91], 1
	s_wait_alu depctr_sa_sdst(0)
	v_add_co_u32 v2, vcc_lo, v0, s0
	s_wait_alu depctr_va_vcc(0)
	v_add_co_ci_u32_e64 v3, null, s1, v1, vcc_lo
	.loc	1 102 21                        ; attention_bwd.py:102:21 @[ attention_bwd.py:253:40 ]
	global_load_u16 v51, v[2:3], off
	s_and_b32 vcc_lo, exec_lo, s2
	s_wait_alu depctr_sa_sdst(0)
	s_cbranch_vccz .LBB0_96
	s_branch .LBB0_97
.LBB0_146:
	.loc	1 94 49                         ; attention_bwd.py:94:49 @[ attention_bwd.py:253:40 ]
	s_lshl_b64 s[0:1], s[6:7], 1
	s_wait_alu depctr_sa_sdst(0)
	v_add_co_u32 v0, vcc_lo, v4, s0
	s_wait_alu depctr_va_vcc(0)
	v_add_co_ci_u32_e64 v1, null, s1, v5, vcc_lo
	.loc	1 103 21                        ; attention_bwd.py:103:21 @[ attention_bwd.py:253:40 ]
	global_load_u16 v53, v[0:1], off
	s_and_b32 vcc_lo, exec_lo, s2
	s_wait_alu depctr_sa_sdst(0)
	s_cbranch_vccnz .LBB0_99
.LBB0_147:
	.loc	1 94 49                         ; attention_bwd.py:94:49 @[ attention_bwd.py:253:40 ]
	s_lshl_b64 s[0:1], s[42:43], 1
	s_wait_alu depctr_sa_sdst(0)
	v_add_co_u32 v0, vcc_lo, v4, s0
	s_wait_alu depctr_va_vcc(0)
	v_add_co_ci_u32_e64 v1, null, s1, v5, vcc_lo
	.loc	1 103 21                        ; attention_bwd.py:103:21 @[ attention_bwd.py:253:40 ]
	global_load_u16 v52, v[0:1], off
	v_dual_mov_b32 v54, 0 :: v_dual_mov_b32 v55, 0
	s_and_b32 vcc_lo, exec_lo, s2
	s_wait_alu depctr_sa_sdst(0)
	s_cbranch_vccnz .LBB0_100
.LBB0_148:
	.loc	1 94 49                         ; attention_bwd.py:94:49 @[ attention_bwd.py:253:40 ]
	s_lshl_b64 s[0:1], s[44:45], 1
	s_wait_alu depctr_sa_sdst(0)
	v_add_co_u32 v0, vcc_lo, v4, s0
	s_wait_alu depctr_va_vcc(0)
	v_add_co_ci_u32_e64 v1, null, s1, v5, vcc_lo
	.loc	1 103 21                        ; attention_bwd.py:103:21 @[ attention_bwd.py:253:40 ]
	global_load_u16 v55, v[0:1], off
	s_and_b32 vcc_lo, exec_lo, s2
	s_wait_alu depctr_sa_sdst(0)
	s_cbranch_vccnz .LBB0_101
.LBB0_149:
	.loc	1 94 49                         ; attention_bwd.py:94:49 @[ attention_bwd.py:253:40 ]
	s_lshl_b64 s[0:1], s[46:47], 1
	s_wait_alu depctr_sa_sdst(0)
	v_add_co_u32 v0, vcc_lo, v4, s0
	s_wait_alu depctr_va_vcc(0)
	v_add_co_ci_u32_e64 v1, null, s1, v5, vcc_lo
	.loc	1 103 21                        ; attention_bwd.py:103:21 @[ attention_bwd.py:253:40 ]
	global_load_u16 v54, v[0:1], off
	v_dual_mov_b32 v116, 0 :: v_dual_mov_b32 v117, 0
	s_and_b32 vcc_lo, exec_lo, s2
	s_wait_alu depctr_sa_sdst(0)
	s_cbranch_vccnz .LBB0_102
.LBB0_150:
	.loc	1 94 49                         ; attention_bwd.py:94:49 @[ attention_bwd.py:253:40 ]
	s_lshl_b64 s[0:1], s[76:77], 1
	s_wait_alu depctr_sa_sdst(0)
	v_add_co_u32 v0, vcc_lo, v4, s0
	s_wait_alu depctr_va_vcc(0)
	v_add_co_ci_u32_e64 v1, null, s1, v5, vcc_lo
	.loc	1 103 21                        ; attention_bwd.py:103:21 @[ attention_bwd.py:253:40 ]
	global_load_u16 v117, v[0:1], off
	s_and_b32 vcc_lo, exec_lo, s2
	s_wait_alu depctr_sa_sdst(0)
	s_cbranch_vccnz .LBB0_103
.LBB0_151:
	.loc	1 94 49                         ; attention_bwd.py:94:49 @[ attention_bwd.py:253:40 ]
	s_lshl_b64 s[0:1], s[48:49], 1
	s_wait_alu depctr_sa_sdst(0)
	v_add_co_u32 v0, vcc_lo, v4, s0
	s_wait_alu depctr_va_vcc(0)
	v_add_co_ci_u32_e64 v1, null, s1, v5, vcc_lo
	.loc	1 103 21                        ; attention_bwd.py:103:21 @[ attention_bwd.py:253:40 ]
	global_load_u16 v116, v[0:1], off
	v_dual_mov_b32 v118, 0 :: v_dual_mov_b32 v119, 0
	s_and_b32 vcc_lo, exec_lo, s2
	s_wait_alu depctr_sa_sdst(0)
	s_cbranch_vccnz .LBB0_104
.LBB0_152:
	.loc	1 94 49                         ; attention_bwd.py:94:49 @[ attention_bwd.py:253:40 ]
	s_lshl_b64 s[0:1], s[8:9], 1
	s_wait_alu depctr_sa_sdst(0)
	v_add_co_u32 v0, vcc_lo, v4, s0
	s_wait_alu depctr_va_vcc(0)
	v_add_co_ci_u32_e64 v1, null, s1, v5, vcc_lo
	.loc	1 103 21                        ; attention_bwd.py:103:21 @[ attention_bwd.py:253:40 ]
	global_load_u16 v119, v[0:1], off
	s_and_b32 vcc_lo, exec_lo, s2
	s_wait_alu depctr_sa_sdst(0)
	s_cbranch_vccz .LBB0_105
	s_branch .LBB0_106
.Ltmp33:
	.section	.rodata,"a",@progbits
	.p2align	6, 0x0
	.amdhsa_kernel _attn_bwd
		.amdhsa_group_segment_fixed_size 0
		.amdhsa_private_segment_fixed_size 976
		.amdhsa_kernarg_size 120
		.amdhsa_user_sgpr_count 2
		.amdhsa_user_sgpr_dispatch_ptr 0
		.amdhsa_user_sgpr_queue_ptr 0
		.amdhsa_user_sgpr_kernarg_segment_ptr 1
		.amdhsa_user_sgpr_dispatch_id 0
		.amdhsa_user_sgpr_private_segment_size 0
		.amdhsa_wavefront_size32 1
		.amdhsa_uses_dynamic_stack 0
		.amdhsa_enable_private_segment 1
		.amdhsa_system_sgpr_workgroup_id_x 1
		.amdhsa_system_sgpr_workgroup_id_y 1
		.amdhsa_system_sgpr_workgroup_id_z 1
		.amdhsa_system_sgpr_workgroup_info 0
		.amdhsa_system_vgpr_workitem_id 0
		.amdhsa_next_free_vgpr 256
		.amdhsa_next_free_sgpr 105
		.amdhsa_reserve_vcc 1
		.amdhsa_float_round_mode_32 0
		.amdhsa_float_round_mode_16_64 0
		.amdhsa_float_denorm_mode_32 3
		.amdhsa_float_denorm_mode_16_64 3
		.amdhsa_fp16_overflow 0
		.amdhsa_workgroup_processor_mode 1
		.amdhsa_memory_ordered 1
		.amdhsa_forward_progress 1
		.amdhsa_inst_pref_size 255
		.amdhsa_round_robin_scheduling 0
		.amdhsa_exception_fp_ieee_invalid_op 0
		.amdhsa_exception_fp_denorm_src 0
		.amdhsa_exception_fp_ieee_div_zero 0
		.amdhsa_exception_fp_ieee_overflow 0
		.amdhsa_exception_fp_ieee_underflow 0
		.amdhsa_exception_fp_ieee_inexact 0
		.amdhsa_exception_int_div_zero 0
	.end_amdhsa_kernel
	.text
.Lfunc_end0:
	.size	_attn_bwd, .Lfunc_end0-_attn_bwd
	.cfi_endproc
                                        ; -- End function
	.set _attn_bwd.num_vgpr, 256
	.set _attn_bwd.num_agpr, 0
	.set _attn_bwd.numbered_sgpr, 105
	.set _attn_bwd.num_named_barrier, 0
	.set _attn_bwd.private_seg_size, 976
	.set _attn_bwd.uses_vcc, 1
	.set _attn_bwd.uses_flat_scratch, 1
	.set _attn_bwd.has_dyn_sized_stack, 0
	.set _attn_bwd.has_recursion, 0
	.set _attn_bwd.has_indirect_call, 0
	.section	.AMDGPU.csdata,"",@progbits
; Kernel info:
; codeLenInByte = 51332
; TotalNumSgprs: 107
; NumVgprs: 256
; ScratchSize: 976
; MemoryBound: 0
; FloatMode: 240
; IeeeMode: 1
; LDSByteSize: 0 bytes/workgroup (compile time only)
; SGPRBlocks: 0
; VGPRBlocks: 31
; NumSGPRsForWavesPerEU: 107
; NumVGPRsForWavesPerEU: 256
; Occupancy: 5
; WaveLimiterHint : 0
; COMPUTE_PGM_RSRC2:SCRATCH_EN: 1
; COMPUTE_PGM_RSRC2:USER_SGPR: 2
; COMPUTE_PGM_RSRC2:TRAP_HANDLER: 0
; COMPUTE_PGM_RSRC2:TGID_X_EN: 1
; COMPUTE_PGM_RSRC2:TGID_Y_EN: 1
; COMPUTE_PGM_RSRC2:TGID_Z_EN: 1
; COMPUTE_PGM_RSRC2:TIDIG_COMP_CNT: 0
	.text
	.p2alignl 7, 3214868480
	.fill 96, 4, 3214868480
	.section	.AMDGPU.gpr_maximums,"",@progbits
	.set amdgpu.max_num_vgpr, 0
	.set amdgpu.max_num_agpr, 0
	.set amdgpu.max_num_sgpr, 0
	.set amdgpu.max_num_named_barrier, 0
	.text
	.section	.debug_abbrev,"",@progbits
	.byte	1                               ; Abbreviation Code
	.byte	17                              ; DW_TAG_compile_unit
	.byte	1                               ; DW_CHILDREN_yes
	.byte	37                              ; DW_AT_producer
	.byte	14                              ; DW_FORM_strp
	.byte	19                              ; DW_AT_language
	.byte	5                               ; DW_FORM_data2
	.byte	3                               ; DW_AT_name
	.byte	14                              ; DW_FORM_strp
	.byte	16                              ; DW_AT_stmt_list
	.byte	23                              ; DW_FORM_sec_offset
	.byte	27                              ; DW_AT_comp_dir
	.byte	14                              ; DW_FORM_strp
	.byte	17                              ; DW_AT_low_pc
	.byte	1                               ; DW_FORM_addr
	.byte	18                              ; DW_AT_high_pc
	.byte	6                               ; DW_FORM_data4
	.byte	0                               ; EOM(1)
	.byte	0                               ; EOM(2)
	.byte	2                               ; Abbreviation Code
	.byte	46                              ; DW_TAG_subprogram
	.byte	0                               ; DW_CHILDREN_no
	.byte	3                               ; DW_AT_name
	.byte	14                              ; DW_FORM_strp
	.byte	32                              ; DW_AT_inline
	.byte	11                              ; DW_FORM_data1
	.byte	0                               ; EOM(1)
	.byte	0                               ; EOM(2)
	.byte	3                               ; Abbreviation Code
	.byte	46                              ; DW_TAG_subprogram
	.byte	1                               ; DW_CHILDREN_yes
	.byte	17                              ; DW_AT_low_pc
	.byte	1                               ; DW_FORM_addr
	.byte	18                              ; DW_AT_high_pc
	.byte	6                               ; DW_FORM_data4
	.byte	49                              ; DW_AT_abstract_origin
	.byte	19                              ; DW_FORM_ref4
	.byte	0                               ; EOM(1)
	.byte	0                               ; EOM(2)
	.byte	4                               ; Abbreviation Code
	.byte	29                              ; DW_TAG_inlined_subroutine
	.byte	0                               ; DW_CHILDREN_no
	.byte	49                              ; DW_AT_abstract_origin
	.byte	19                              ; DW_FORM_ref4
	.byte	85                              ; DW_AT_ranges
	.byte	23                              ; DW_FORM_sec_offset
	.byte	88                              ; DW_AT_call_file
	.byte	11                              ; DW_FORM_data1
	.byte	89                              ; DW_AT_call_line
	.byte	11                              ; DW_FORM_data1
	.byte	87                              ; DW_AT_call_column
	.byte	11                              ; DW_FORM_data1
	.byte	0                               ; EOM(1)
	.byte	0                               ; EOM(2)
	.byte	0                               ; EOM(3)
	.section	.debug_info,"",@progbits
.Lcu_begin0:
	.long	.Ldebug_info_end0-.Ldebug_info_start0 ; Length of Unit
.Ldebug_info_start0:
	.short	4                               ; DWARF version number
	.long	.debug_abbrev                   ; Offset Into Abbrev. Section
	.byte	8                               ; Address Size (in bytes)
	.byte	1                               ; Abbrev [1] 0xb:0x50 DW_TAG_compile_unit
	.long	.Linfo_string0                  ; DW_AT_producer
	.short	2                               ; DW_AT_language
	.long	.Linfo_string1                  ; DW_AT_name
	.long	.Lline_table_start0             ; DW_AT_stmt_list
	.long	.Linfo_string2                  ; DW_AT_comp_dir
	.quad	.Lfunc_begin0                   ; DW_AT_low_pc
	.long	.Lfunc_end0-.Lfunc_begin0       ; DW_AT_high_pc
	.byte	2                               ; Abbrev [2] 0x2a:0x6 DW_TAG_subprogram
	.long	.Linfo_string3                  ; DW_AT_name
	.byte	1                               ; DW_AT_inline
	.byte	3                               ; Abbrev [3] 0x30:0x2a DW_TAG_subprogram
	.quad	.Lfunc_begin0                   ; DW_AT_low_pc
	.long	.Lfunc_end0-.Lfunc_begin0       ; DW_AT_high_pc
	.long	42                              ; DW_AT_abstract_origin
	.byte	4                               ; Abbrev [4] 0x41:0xc DW_TAG_inlined_subroutine
	.long	42                              ; DW_AT_abstract_origin
	.long	.Ldebug_ranges0                 ; DW_AT_ranges
	.byte	1                               ; DW_AT_call_file
	.byte	253                             ; DW_AT_call_line
	.byte	40                              ; DW_AT_call_column
	.byte	4                               ; Abbrev [4] 0x4d:0xc DW_TAG_inlined_subroutine
	.long	42                              ; DW_AT_abstract_origin
	.long	.Ldebug_ranges1                 ; DW_AT_ranges
	.byte	1                               ; DW_AT_call_file
	.byte	200                             ; DW_AT_call_line
	.byte	26                              ; DW_AT_call_column
	.byte	0                               ; End Of Children Mark
	.byte	0                               ; End Of Children Mark
.Ldebug_info_end0:
	.section	.debug_ranges,"",@progbits
.Ldebug_ranges0:
	.quad	.Ltmp0-.Lfunc_begin0
	.quad	.Ltmp1-.Lfunc_begin0
	;; [unrolled: 1-line block ×10, first 2 shown]
	.quad	0
	.quad	0
.Ldebug_ranges1:
	.quad	.Ltmp2-.Lfunc_begin0
	.quad	.Ltmp3-.Lfunc_begin0
	;; [unrolled: 1-line block ×24, first 2 shown]
	.quad	0
	.quad	0
	.section	.debug_str,"MS",@progbits,1
.Linfo_string0:
	.asciz	"triton"                        ; string offset=0
.Linfo_string1:
	.asciz	"attention_bwd.py"              ; string offset=7
.Linfo_string2:
	.asciz	"/root/src/amdgpu-assembly/repos/triton-lang__triton-aot" ; string offset=24
.Linfo_string3:
	.asciz	"_attn_bwd"                     ; string offset=80
	.section	".note.GNU-stack","",@progbits
	.amdgpu_metadata
---
amdhsa.kernels:
  - .args:
      - .address_space:  global
        .offset:         0
        .size:           8
        .value_kind:     global_buffer
      - .address_space:  global
        .offset:         8
        .size:           8
        .value_kind:     global_buffer
      - .address_space:  global
        .offset:         16
        .size:           8
        .value_kind:     global_buffer
      - .offset:         24
        .size:           4
        .value_kind:     by_value
      - .address_space:  global
        .offset:         32
        .size:           8
        .value_kind:     global_buffer
      - .address_space:  global
        .offset:         40
        .size:           8
        .value_kind:     global_buffer
      - .address_space:  global
        .offset:         48
        .size:           8
        .value_kind:     global_buffer
      - .address_space:  global
        .offset:         56
        .size:           8
        .value_kind:     global_buffer
      - .address_space:  global
        .offset:         64
        .size:           8
        .value_kind:     global_buffer
      - .address_space:  global
        .offset:         72
        .size:           8
        .value_kind:     global_buffer
      - .offset:         80
        .size:           4
        .value_kind:     by_value
      - .offset:         84
        .size:           4
        .value_kind:     by_value
      - .offset:         88
        .size:           4
        .value_kind:     by_value
      - .offset:         92
        .size:           4
        .value_kind:     by_value
      - .offset:         96
        .size:           4
        .value_kind:     by_value
      - .offset:         100
        .size:           4
        .value_kind:     by_value
      - .address_space:  global
        .offset:         104
        .size:           8
        .value_kind:     global_buffer
      - .address_space:  global
        .offset:         112
        .size:           8
        .value_kind:     global_buffer
    .group_segment_fixed_size: 0
    .kernarg_segment_align: 8
    .kernarg_segment_size: 120
    .max_flat_workgroup_size: 256
    .name:           _attn_bwd
    .private_segment_fixed_size: 976
    .sgpr_count:     107
    .sgpr_spill_count: 119
    .symbol:         _attn_bwd.kd
    .uniform_work_group_size: 1
    .uses_dynamic_stack: false
    .vgpr_count:     256
    .vgpr_spill_count: 406
    .wavefront_size: 32
    .workgroup_processor_mode: 1
amdhsa.target:   amdgcn-amd-amdhsa--gfx1201
amdhsa.version:
  - 1
  - 2
...

	.end_amdgpu_metadata
	.section	.debug_line,"",@progbits
.Lline_table_start0:
